;; amdgpu-corpus repo=zjin-lcf/HeCBench kind=compiled arch=gfx1030 opt=O3
	.amdgcn_target "amdgcn-amd-amdhsa--gfx1030"
	.amdhsa_code_object_version 6
	.text
	.protected	_Z9fft1D_512P15HIP_vector_typeIdLj2EE ; -- Begin function _Z9fft1D_512P15HIP_vector_typeIdLj2EE
	.globl	_Z9fft1D_512P15HIP_vector_typeIdLj2EE
	.p2align	8
	.type	_Z9fft1D_512P15HIP_vector_typeIdLj2EE,@function
_Z9fft1D_512P15HIP_vector_typeIdLj2EE:  ; @_Z9fft1D_512P15HIP_vector_typeIdLj2EE
; %bb.0:
	s_load_dwordx2 s[4:5], s[4:5], 0x0
	v_lshl_add_u32 v1, s6, 9, v0
	s_add_u32 s0, s0, s7
	s_addc_u32 s1, s1, 0
	s_mov_b32 s48, 0x667f3bcd
	s_mov_b32 s49, 0x3fe6a09e
	v_ashrrev_i32_e32 v2, 31, v1
	s_movk_i32 s12, 0x60
	s_movk_i32 s15, 0x70
	v_mov_b32_e32 v41, 16
	v_mov_b32_e32 v40, 32
	v_lshlrev_b64 v[1:2], 4, v[1:2]
	v_mov_b32_e32 v39, 48
	v_mov_b32_e32 v42, 64
	s_mov_b32 s8, 0x54442d18
	s_mov_b32 s10, 0x54442d18
	;; [unrolled: 1-line block ×6, first 2 shown]
	s_waitcnt lgkmcnt(0)
	v_add_co_u32 v29, vcc_lo, s4, v1
	v_add_co_ci_u32_e64 v30, null, s5, v2, vcc_lo
	s_movk_i32 s4, 0x50
	v_add_co_u32 v1, vcc_lo, 0x800, v29
	global_load_dwordx4 v[31:34], v[29:30], off
	v_add_co_ci_u32_e64 v2, null, 0, v30, vcc_lo
	v_add_co_u32 v5, vcc_lo, 0x1800, v29
	v_add_co_ci_u32_e64 v6, null, 0, v30, vcc_lo
	s_clause 0x1
	global_load_dwordx4 v[9:12], v[1:2], off offset:1024
	global_load_dwordx4 v[1:4], v[5:6], off offset:1024
	v_add_co_u32 v7, vcc_lo, 0x1000, v29
	v_add_co_ci_u32_e64 v8, null, 0, v30, vcc_lo
	s_clause 0x1
	global_load_dwordx4 v[25:28], v[29:30], off offset:1024
	global_load_dwordx4 v[17:20], v[7:8], off offset:1024
	v_add_co_u32 v13, vcc_lo, v29, 0x1000
	v_add_co_ci_u32_e64 v14, null, 0, v30, vcc_lo
	s_clause 0x2
	global_load_dwordx4 v[5:8], v[5:6], off
	global_load_dwordx4 v[21:24], v[13:14], off offset:-2048
	global_load_dwordx4 v[13:16], v[13:14], off
	v_mov_b32_e32 v45, s4
	s_mov_b32 s24, 0x46cc5e42
	s_mov_b32 s26, 0xa17f65f6
	;; [unrolled: 1-line block ×32, first 2 shown]
	s_getpc_b64 s[6:7]
	s_add_u32 s6, s6, __const._Z9fft1D_512P15HIP_vector_typeIdLj2EE.reversed@rel32@lo+8
	s_addc_u32 s7, s7, __const._Z9fft1D_512P15HIP_vector_typeIdLj2EE.reversed@rel32@hi+16
	s_waitcnt vmcnt(7)
	buffer_store_dword v34, off, s[0:3], 0 offset:12
	buffer_store_dword v33, off, s[0:3], 0 offset:8
	;; [unrolled: 1-line block ×3, first 2 shown]
	buffer_store_dword v31, off, s[0:3], 0
	s_clause 0x3
	buffer_load_dword v35, off, s[0:3], 0
	buffer_load_dword v36, off, s[0:3], 0 offset:4
	buffer_load_dword v37, off, s[0:3], 0 offset:8
	;; [unrolled: 1-line block ×3, first 2 shown]
	v_mov_b32_e32 v31, 0
	s_waitcnt vmcnt(9)
	v_add_f64 v[32:33], v[9:10], -v[1:2]
	v_add_f64 v[43:44], v[11:12], -v[3:4]
	v_add_f64 v[58:59], v[9:10], v[1:2]
	v_add_f64 v[60:61], v[11:12], v[3:4]
	s_waitcnt vmcnt(8)
	buffer_store_dword v28, off, s[0:3], 0 offset:28
	s_waitcnt vmcnt(7)
	v_add_f64 v[46:47], v[25:26], -v[17:18]
	v_add_f64 v[48:49], v[27:28], -v[19:20]
	v_add_f64 v[54:55], v[25:26], v[17:18]
	v_add_f64 v[56:57], v[27:28], v[19:20]
	buffer_store_dword v27, off, s[0:3], 0 offset:24
	buffer_store_dword v26, off, s[0:3], 0 offset:20
	;; [unrolled: 1-line block ×3, first 2 shown]
	s_waitcnt vmcnt(5)
	buffer_store_dword v24, off, s[0:3], 0 offset:44
	v_add_f64 v[62:63], v[21:22], -v[5:6]
	v_add_f64 v[64:65], v[23:24], -v[7:8]
	v_add_f64 v[25:26], v[21:22], v[5:6]
	buffer_store_dword v23, off, s[0:3], 0 offset:40
	buffer_store_dword v22, off, s[0:3], 0 offset:36
	;; [unrolled: 1-line block ×7, first 2 shown]
	s_waitcnt vmcnt(4)
	buffer_store_dword v16, off, s[0:3], 0 offset:76
	buffer_store_dword v15, off, s[0:3], 0 offset:72
	;; [unrolled: 1-line block ×10, first 2 shown]
	v_add_f64 v[50:51], v[43:44], -v[32:33]
	v_add_f64 v[52:53], -v[43:44], -v[32:33]
	v_cvt_f64_u32_e32 v[33:34], v0
	buffer_store_dword v6, off, s[0:3], 0 offset:100
	buffer_store_dword v5, off, s[0:3], 0 offset:96
	;; [unrolled: 1-line block ×4, first 2 shown]
	v_add_f64 v[66:67], v[46:47], v[48:49]
	v_add_f64 v[46:47], v[48:49], -v[46:47]
	v_add_f64 v[21:22], v[54:55], -v[58:59]
	buffer_store_dword v2, off, s[0:3], 0 offset:116
	buffer_store_dword v1, off, s[0:3], 0 offset:112
	v_mov_b32_e32 v44, s12
	v_mov_b32_e32 v43, s15
	v_fma_f64 v[10:11], v[62:63], 0, v[64:65]
	v_fma_f64 v[62:63], v[64:65], 0, -v[62:63]
	v_mul_f64 v[50:51], v[50:51], s[48:49]
	v_mul_f64 v[48:49], v[52:53], s[48:49]
	v_add_f64 v[52:53], v[23:24], v[7:8]
	v_add_f64 v[23:24], v[56:57], -v[60:61]
	v_add_f64 v[56:57], v[56:57], v[60:61]
	v_fma_f64 v[64:65], v[66:67], s[48:49], -v[50:51]
	v_fma_f64 v[70:71], v[46:47], s[48:49], -v[48:49]
	v_fma_f64 v[17:18], v[21:22], 0, v[23:24]
	v_fma_f64 v[21:22], v[23:24], 0, -v[21:22]
	s_waitcnt vmcnt(2)
	v_add_f64 v[27:28], v[35:36], v[13:14]
	v_add_f64 v[35:36], v[35:36], -v[13:14]
	s_waitcnt vmcnt(0)
	v_add_f64 v[68:69], v[37:38], v[15:16]
	v_add_f64 v[37:38], v[37:38], -v[15:16]
	v_add_f64 v[15:16], v[54:55], v[58:59]
	v_fma_f64 v[12:13], v[66:67], s[48:49], v[50:51]
	v_fma_f64 v[50:51], v[70:71], 0, -v[64:65]
	v_add_f64 v[54:55], v[27:28], v[25:26]
	v_add_f64 v[19:20], v[27:28], -v[25:26]
	v_add_f64 v[58:59], v[68:69], v[52:53]
	v_add_f64 v[23:24], v[68:69], -v[52:53]
	v_add_f64 v[27:28], v[35:36], v[10:11]
	v_fma_f64 v[25:26], v[46:47], s[48:49], v[48:49]
	v_add_f64 v[46:47], v[37:38], v[62:63]
	v_fma_f64 v[48:49], v[64:65], 0, v[70:71]
	v_add_f64 v[9:10], v[35:36], -v[10:11]
	v_add_f64 v[35:36], v[37:38], -v[62:63]
	v_add_f64 v[7:8], v[54:55], v[15:16]
	v_add_f64 v[5:6], v[54:55], -v[15:16]
	v_add_f64 v[37:38], v[58:59], v[56:57]
	;; [unrolled: 2-line block ×3, first 2 shown]
	v_add_f64 v[52:53], v[23:24], v[21:22]
	v_add_f64 v[1:2], v[19:20], -v[17:18]
	v_add_f64 v[16:17], v[23:24], -v[21:22]
	v_add_f64 v[18:19], v[27:28], v[12:13]
	v_add_f64 v[20:21], v[46:47], v[25:26]
	v_add_f64 v[11:12], v[27:28], -v[12:13]
	v_add_f64 v[22:23], v[46:47], -v[25:26]
	v_add_f64 v[24:25], v[9:10], v[48:49]
	v_add_f64 v[26:27], v[35:36], v[50:51]
	v_add_f64 v[9:10], v[9:10], -v[48:49]
	v_add_f64 v[35:36], v[35:36], -v[50:51]
	buffer_store_dword v8, off, s[0:3], 0 offset:4
	buffer_store_dword v7, off, s[0:3], 0
	buffer_store_dword v38, off, s[0:3], 0 offset:12
	buffer_store_dword v37, off, s[0:3], 0 offset:8
	;; [unrolled: 1-line block ×30, first 2 shown]
	s_branch .LBB0_2
.LBB0_1:                                ;   in Loop: Header=BB0_2 Depth=1
	s_or_b32 exec_lo, exec_lo, s4
	v_mul_f64 v[13:14], v[21:22], v[21:22]
	v_mul_f64 v[15:16], v[9:10], v[9:10]
	v_mul_f64 v[50:51], v[23:24], 0.5
	v_mul_f64 v[58:59], v[11:12], 0.5
	v_cmp_class_f64_e64 vcc_lo, v[5:6], 0x1f8
	v_lshlrev_b32_e32 v5, 30, v26
	s_add_i32 s33, s33, 16
	s_add_u32 s6, s6, 4
	s_addc_u32 s7, s7, 0
	s_cmpk_eq_i32 s33, 0x80
	v_fma_f64 v[17:18], v[13:14], s[38:39], s[36:37]
	v_fma_f64 v[19:20], v[15:16], s[38:39], s[36:37]
	v_fma_f64 v[27:28], v[13:14], s[24:25], s[22:23]
	v_mul_f64 v[35:36], v[13:14], 0.5
	v_fma_f64 v[37:38], v[15:16], s[24:25], s[22:23]
	v_mul_f64 v[46:47], v[15:16], 0.5
	v_mul_f64 v[52:53], v[21:22], -v[13:14]
	v_mul_f64 v[60:61], v[9:10], -v[15:16]
	v_fma_f64 v[17:18], v[13:14], v[17:18], s[40:41]
	v_fma_f64 v[19:20], v[15:16], v[19:20], s[40:41]
	;; [unrolled: 1-line block ×3, first 2 shown]
	v_add_f64 v[48:49], -v[35:36], 1.0
	v_fma_f64 v[37:38], v[15:16], v[37:38], s[26:27]
	v_add_f64 v[54:55], -v[46:47], 1.0
	v_fma_f64 v[17:18], v[13:14], v[17:18], s[42:43]
	v_fma_f64 v[19:20], v[15:16], v[19:20], s[42:43]
	v_fma_f64 v[27:28], v[13:14], v[27:28], s[28:29]
	v_add_f64 v[56:57], -v[48:49], 1.0
	v_fma_f64 v[37:38], v[15:16], v[37:38], s[28:29]
	v_add_f64 v[62:63], -v[54:55], 1.0
	v_fma_f64 v[17:18], v[13:14], v[17:18], s[44:45]
	v_fma_f64 v[19:20], v[15:16], v[19:20], s[44:45]
	;; [unrolled: 1-line block ×3, first 2 shown]
	v_add_f64 v[35:36], v[56:57], -v[35:36]
	v_fma_f64 v[37:38], v[15:16], v[37:38], s[30:31]
	v_add_f64 v[46:47], v[62:63], -v[46:47]
	v_fma_f64 v[17:18], v[52:53], v[17:18], v[50:51]
	v_fma_f64 v[19:20], v[60:61], v[19:20], v[58:59]
	v_mul_f64 v[50:51], v[13:14], v[13:14]
	v_fma_f64 v[27:28], v[13:14], v[27:28], s[34:35]
	v_fma_f64 v[35:36], v[21:22], -v[23:24], v[35:36]
	v_fma_f64 v[13:14], v[13:14], v[17:18], -v[23:24]
	v_fma_f64 v[17:18], v[15:16], v[19:20], -v[11:12]
	v_mul_f64 v[19:20], v[15:16], v[15:16]
	v_fma_f64 v[15:16], v[15:16], v[37:38], s[34:35]
	v_fma_f64 v[11:12], v[9:10], -v[11:12], v[46:47]
	v_fma_f64 v[23:24], v[50:51], v[27:28], v[35:36]
	v_fma_f64 v[13:14], v[52:53], s[46:47], v[13:14]
	;; [unrolled: 1-line block ×4, first 2 shown]
	v_add_f64 v[15:16], v[48:49], v[23:24]
	v_and_b32_e32 v19, 1, v26
	v_xor_b32_e32 v20, v5, v6
	v_cmp_eq_u32_e64 s4, 0, v19
	v_add_f64 v[13:14], v[21:22], -v[13:14]
	v_add_f64 v[5:6], v[9:10], -v[17:18]
	v_and_b32_e32 v17, 0x80000000, v20
	v_add_f64 v[9:10], v[54:55], v[11:12]
	v_cndmask_b32_e64 v11, v16, v14, s4
	v_cndmask_b32_e64 v12, v15, v13, s4
	v_and_b32_e32 v14, 1, v25
	v_lshlrev_b32_e32 v15, 30, v25
	v_xor_b32_e32 v6, 0x80000000, v6
	v_xor_b32_e32 v13, v11, v17
	v_cndmask_b32_e32 v11, 0, v12, vcc_lo
	v_cmp_eq_u32_e64 s4, 0, v14
	v_and_b32_e32 v15, 0x80000000, v15
	v_cndmask_b32_e32 v12, 0x7ff80000, v13, vcc_lo
	v_cndmask_b32_e64 v6, v6, v10, s4
	v_cndmask_b32_e64 v5, v5, v9, s4
	s_waitcnt vmcnt(0)
	v_mul_f64 v[13:14], v[3:4], v[11:12]
	v_mul_f64 v[11:12], v[1:2], v[11:12]
	v_xor_b32_e32 v6, v6, v15
	v_cndmask_b32_e32 v5, 0, v5, vcc_lo
	v_cndmask_b32_e32 v6, 0x7ff80000, v6, vcc_lo
	v_fma_f64 v[1:2], v[1:2], v[5:6], -v[13:14]
	v_fma_f64 v[3:4], v[3:4], v[5:6], v[11:12]
	v_mov_b32_e32 v5, s48
	buffer_store_dword v2, v5, s[0:3], 0 offen offset:4
	buffer_store_dword v1, v5, s[0:3], 0 offen
	buffer_store_dword v4, v5, s[0:3], 0 offen offset:12
	buffer_store_dword v3, v5, s[0:3], 0 offen offset:8
	s_cbranch_scc1 .LBB0_10
.LBB0_2:                                ; =>This Inner Loop Header: Depth=1
	v_mov_b32_e32 v4, s33
	s_mov_b32 s48, s33
                                        ; implicit-def: $vgpr25
                                        ; implicit-def: $vgpr9_vgpr10
                                        ; implicit-def: $vgpr11_vgpr12
	s_clause 0x3
	buffer_load_dword v1, v4, s[0:3], 0 offen
	buffer_load_dword v2, v4, s[0:3], 0 offen offset:4
	buffer_load_dword v3, v4, s[0:3], 0 offen offset:8
	;; [unrolled: 1-line block ×3, first 2 shown]
	s_load_dword s4, s[6:7], 0x0
	s_waitcnt lgkmcnt(0)
	v_cvt_f64_i32_e32 v[5:6], s4
	v_mul_f64 v[5:6], v[5:6], s[8:9]
	v_ldexp_f64 v[5:6], v[5:6], -9
	v_mul_f64 v[5:6], v[5:6], v[33:34]
	v_cmp_ngt_f64_e64 s49, 0x41d00000, |v[5:6]|
	v_trig_preop_f64 v[17:18], |v[5:6]|, 0
	v_trig_preop_f64 v[15:16], |v[5:6]|, 1
	v_ldexp_f64 v[19:20], |v[5:6]|, 0xffffff80
	v_trig_preop_f64 v[13:14], |v[5:6]|, 2
	v_and_b32_e32 v27, 0x7fffffff, v6
	s_and_saveexec_b32 s4, s49
	s_xor_b32 s12, exec_lo, s4
	s_cbranch_execz .LBB0_4
; %bb.3:                                ;   in Loop: Header=BB0_2 Depth=1
	v_cmp_le_f64_e64 vcc_lo, 0x7b000000, |v[5:6]|
	s_mov_b32 s4, s10
	s_mov_b32 s15, s13
	v_cndmask_b32_e32 v10, v27, v20, vcc_lo
	v_cndmask_b32_e32 v9, v5, v19, vcc_lo
	v_mul_f64 v[11:12], v[17:18], v[9:10]
	v_mul_f64 v[21:22], v[15:16], v[9:10]
	;; [unrolled: 1-line block ×3, first 2 shown]
	v_fma_f64 v[23:24], v[17:18], v[9:10], -v[11:12]
	v_fma_f64 v[50:51], v[15:16], v[9:10], -v[21:22]
	v_fma_f64 v[9:10], v[13:14], v[9:10], -v[48:49]
	v_add_f64 v[25:26], v[21:22], v[23:24]
	v_add_f64 v[35:36], v[25:26], -v[21:22]
	v_add_f64 v[46:47], v[11:12], v[25:26]
	v_add_f64 v[37:38], v[25:26], -v[35:36]
	v_add_f64 v[23:24], v[23:24], -v[35:36]
	v_ldexp_f64 v[35:36], v[46:47], -2
	v_add_f64 v[11:12], v[46:47], -v[11:12]
	v_add_f64 v[21:22], v[21:22], -v[37:38]
	v_add_f64 v[37:38], v[48:49], v[50:51]
	v_cmp_neq_f64_e64 vcc_lo, 0x7ff00000, |v[35:36]|
	v_add_f64 v[11:12], v[25:26], -v[11:12]
	v_add_f64 v[21:22], v[23:24], v[21:22]
	v_fract_f64_e32 v[23:24], v[35:36]
	v_add_f64 v[25:26], v[37:38], v[21:22]
	v_ldexp_f64 v[23:24], v[23:24], 2
	v_add_f64 v[35:36], v[11:12], v[25:26]
	v_cndmask_b32_e32 v24, 0, v24, vcc_lo
	v_cndmask_b32_e32 v23, 0, v23, vcc_lo
	v_add_f64 v[52:53], v[25:26], -v[37:38]
	v_add_f64 v[46:47], v[35:36], v[23:24]
	v_add_f64 v[11:12], v[35:36], -v[11:12]
	v_add_f64 v[58:59], v[25:26], -v[52:53]
	;; [unrolled: 1-line block ×3, first 2 shown]
	v_cmp_gt_f64_e32 vcc_lo, 0, v[46:47]
	v_add_f64 v[46:47], v[37:38], -v[48:49]
	v_add_f64 v[11:12], v[25:26], -v[11:12]
	v_cndmask_b32_e64 v32, 0, 0x40100000, vcc_lo
	v_add_f64 v[56:57], v[37:38], -v[46:47]
	v_add_f64 v[46:47], v[50:51], -v[46:47]
	;; [unrolled: 1-line block ×3, first 2 shown]
	v_add_f64 v[23:24], v[23:24], v[31:32]
	v_add_f64 v[50:51], v[48:49], -v[56:57]
	v_add_f64 v[21:22], v[21:22], v[37:38]
	v_add_f64 v[54:55], v[35:36], v[23:24]
	;; [unrolled: 1-line block ×3, first 2 shown]
	v_cvt_i32_f64_e32 v28, v[54:55]
	v_add_f64 v[21:22], v[46:47], v[21:22]
	v_cvt_f64_i32_e32 v[52:53], v28
	v_add_f64 v[9:10], v[9:10], v[21:22]
	v_add_f64 v[23:24], v[23:24], -v[52:53]
	v_add_f64 v[9:10], v[11:12], v[9:10]
	v_add_f64 v[37:38], v[35:36], v[23:24]
	v_add_f64 v[21:22], v[37:38], -v[23:24]
	v_cmp_le_f64_e32 vcc_lo, 0.5, v[37:38]
	v_add_f64 v[11:12], v[35:36], -v[21:22]
	v_cndmask_b32_e64 v32, 0, 0x3ff00000, vcc_lo
	v_add_co_ci_u32_e64 v25, null, 0, v28, vcc_lo
	v_add_f64 v[9:10], v[9:10], v[11:12]
	v_add_f64 v[11:12], v[37:38], -v[31:32]
	v_add_f64 v[21:22], v[11:12], v[9:10]
	v_mul_f64 v[23:24], v[21:22], s[4:5]
	v_add_f64 v[11:12], v[21:22], -v[11:12]
	v_fma_f64 v[35:36], v[21:22], s[4:5], -v[23:24]
	v_add_f64 v[9:10], v[9:10], -v[11:12]
	v_fma_f64 v[11:12], v[21:22], s[14:15], v[35:36]
	v_fma_f64 v[11:12], v[9:10], s[4:5], v[11:12]
	v_add_f64 v[9:10], v[23:24], v[11:12]
	v_add_f64 v[21:22], v[9:10], -v[23:24]
	v_add_f64 v[11:12], v[11:12], -v[21:22]
	s_andn2_saveexec_b32 s4, s12
	s_cbranch_execz .LBB0_6
	s_branch .LBB0_5
.LBB0_4:                                ;   in Loop: Header=BB0_2 Depth=1
	s_andn2_saveexec_b32 s4, s12
	s_cbranch_execz .LBB0_6
.LBB0_5:                                ;   in Loop: Header=BB0_2 Depth=1
	v_mul_f64 v[9:10], |v[5:6]|, s[16:17]
	s_mov_b32 s12, s18
	v_rndne_f64_e32 v[21:22], v[9:10]
	v_fma_f64 v[9:10], v[21:22], s[10:11], |v[5:6]|
	v_mul_f64 v[11:12], v[21:22], s[18:19]
	v_fma_f64 v[25:26], v[21:22], s[18:19], v[9:10]
	v_add_f64 v[23:24], v[9:10], v[11:12]
	v_add_f64 v[9:10], v[9:10], -v[23:24]
	v_add_f64 v[23:24], v[23:24], -v[25:26]
	v_add_f64 v[9:10], v[9:10], v[11:12]
	v_fma_f64 v[11:12], v[21:22], s[12:13], v[11:12]
	v_add_f64 v[9:10], v[23:24], v[9:10]
	v_add_f64 v[9:10], v[9:10], -v[11:12]
	v_fma_f64 v[11:12], v[21:22], s[20:21], v[9:10]
	v_add_f64 v[9:10], v[25:26], v[11:12]
	v_add_f64 v[23:24], v[9:10], -v[25:26]
	v_cvt_i32_f64_e32 v25, v[21:22]
	v_add_f64 v[11:12], v[11:12], -v[23:24]
.LBB0_6:                                ;   in Loop: Header=BB0_2 Depth=1
	s_or_b32 exec_lo, exec_lo, s4
                                        ; implicit-def: $vgpr26
                                        ; implicit-def: $vgpr21_vgpr22
                                        ; implicit-def: $vgpr23_vgpr24
	s_and_saveexec_b32 s4, s49
	s_xor_b32 s12, exec_lo, s4
	s_cbranch_execz .LBB0_8
; %bb.7:                                ;   in Loop: Header=BB0_2 Depth=1
	v_cmp_le_f64_e64 vcc_lo, 0x7b000000, |v[5:6]|
	s_mov_b32 s4, s10
	s_mov_b32 s15, s13
	v_cndmask_b32_e32 v20, v27, v20, vcc_lo
	v_cndmask_b32_e32 v19, v5, v19, vcc_lo
	v_mul_f64 v[21:22], v[17:18], v[19:20]
	v_mul_f64 v[23:24], v[15:16], v[19:20]
	;; [unrolled: 1-line block ×3, first 2 shown]
	v_fma_f64 v[17:18], v[17:18], v[19:20], -v[21:22]
	v_fma_f64 v[15:16], v[15:16], v[19:20], -v[23:24]
	;; [unrolled: 1-line block ×3, first 2 shown]
	v_add_f64 v[26:27], v[23:24], v[17:18]
	v_add_f64 v[35:36], v[26:27], -v[23:24]
	v_add_f64 v[46:47], v[21:22], v[26:27]
	v_add_f64 v[37:38], v[26:27], -v[35:36]
	v_add_f64 v[17:18], v[17:18], -v[35:36]
	v_ldexp_f64 v[35:36], v[46:47], -2
	v_add_f64 v[21:22], v[46:47], -v[21:22]
	v_add_f64 v[23:24], v[23:24], -v[37:38]
	v_add_f64 v[37:38], v[48:49], v[15:16]
	v_cmp_neq_f64_e64 vcc_lo, 0x7ff00000, |v[35:36]|
	v_add_f64 v[21:22], v[26:27], -v[21:22]
	v_add_f64 v[17:18], v[17:18], v[23:24]
	v_fract_f64_e32 v[23:24], v[35:36]
	v_add_f64 v[26:27], v[37:38], v[17:18]
	v_ldexp_f64 v[23:24], v[23:24], 2
	v_add_f64 v[35:36], v[21:22], v[26:27]
	v_cndmask_b32_e32 v24, 0, v24, vcc_lo
	v_cndmask_b32_e32 v23, 0, v23, vcc_lo
	v_add_f64 v[50:51], v[26:27], -v[37:38]
	v_add_f64 v[46:47], v[35:36], v[23:24]
	v_add_f64 v[19:20], v[35:36], -v[21:22]
	v_add_f64 v[56:57], v[26:27], -v[50:51]
	;; [unrolled: 1-line block ×3, first 2 shown]
	v_cmp_gt_f64_e32 vcc_lo, 0, v[46:47]
	v_add_f64 v[46:47], v[37:38], -v[48:49]
	v_add_f64 v[19:20], v[26:27], -v[19:20]
	v_cndmask_b32_e64 v32, 0, 0x40100000, vcc_lo
	v_add_f64 v[54:55], v[37:38], -v[46:47]
	v_add_f64 v[15:16], v[15:16], -v[46:47]
	;; [unrolled: 1-line block ×3, first 2 shown]
	v_add_f64 v[23:24], v[23:24], v[31:32]
	v_add_f64 v[46:47], v[48:49], -v[54:55]
	v_add_f64 v[17:18], v[17:18], v[37:38]
	v_add_f64 v[52:53], v[35:36], v[23:24]
	v_add_f64 v[15:16], v[15:16], v[46:47]
	v_cvt_i32_f64_e32 v28, v[52:53]
	v_add_f64 v[15:16], v[15:16], v[17:18]
	v_cvt_f64_i32_e32 v[50:51], v28
	v_add_f64 v[13:14], v[13:14], v[15:16]
	v_add_f64 v[23:24], v[23:24], -v[50:51]
	v_add_f64 v[13:14], v[19:20], v[13:14]
	v_add_f64 v[17:18], v[35:36], v[23:24]
	v_add_f64 v[15:16], v[17:18], -v[23:24]
	v_cmp_le_f64_e32 vcc_lo, 0.5, v[17:18]
	v_add_f64 v[15:16], v[35:36], -v[15:16]
	v_cndmask_b32_e64 v32, 0, 0x3ff00000, vcc_lo
	v_add_co_ci_u32_e64 v26, null, 0, v28, vcc_lo
	v_add_f64 v[13:14], v[13:14], v[15:16]
	v_add_f64 v[15:16], v[17:18], -v[31:32]
	v_add_f64 v[17:18], v[15:16], v[13:14]
	v_mul_f64 v[19:20], v[17:18], s[4:5]
	v_add_f64 v[15:16], v[17:18], -v[15:16]
	v_fma_f64 v[21:22], v[17:18], s[4:5], -v[19:20]
	v_add_f64 v[13:14], v[13:14], -v[15:16]
	v_fma_f64 v[15:16], v[17:18], s[14:15], v[21:22]
	v_fma_f64 v[13:14], v[13:14], s[4:5], v[15:16]
	v_add_f64 v[21:22], v[19:20], v[13:14]
	v_add_f64 v[15:16], v[21:22], -v[19:20]
	v_add_f64 v[23:24], v[13:14], -v[15:16]
	s_andn2_saveexec_b32 s4, s12
	s_cbranch_execz .LBB0_1
	s_branch .LBB0_9
.LBB0_8:                                ;   in Loop: Header=BB0_2 Depth=1
	s_andn2_saveexec_b32 s4, s12
	s_cbranch_execz .LBB0_1
.LBB0_9:                                ;   in Loop: Header=BB0_2 Depth=1
	v_mul_f64 v[13:14], |v[5:6]|, s[16:17]
	s_mov_b32 s12, s18
	v_rndne_f64_e32 v[13:14], v[13:14]
	v_fma_f64 v[15:16], v[13:14], s[10:11], |v[5:6]|
	v_mul_f64 v[17:18], v[13:14], s[18:19]
	v_cvt_i32_f64_e32 v26, v[13:14]
	v_fma_f64 v[23:24], v[13:14], s[18:19], v[15:16]
	v_add_f64 v[19:20], v[15:16], v[17:18]
	v_add_f64 v[15:16], v[15:16], -v[19:20]
	v_add_f64 v[19:20], v[19:20], -v[23:24]
	v_add_f64 v[15:16], v[15:16], v[17:18]
	v_fma_f64 v[17:18], v[13:14], s[12:13], v[17:18]
	v_add_f64 v[15:16], v[19:20], v[15:16]
	v_add_f64 v[15:16], v[15:16], -v[17:18]
	v_fma_f64 v[15:16], v[13:14], s[20:21], v[15:16]
	v_add_f64 v[21:22], v[23:24], v[15:16]
	v_add_f64 v[17:18], v[21:22], -v[23:24]
	v_add_f64 v[23:24], v[15:16], -v[17:18]
	s_branch .LBB0_1
.LBB0_10:
	s_clause 0xd
	buffer_load_dword v1, off, s[0:3], 0 offset:16
	buffer_load_dword v2, off, s[0:3], 0 offset:20
	buffer_load_dword v3, off, s[0:3], 0 offset:32
	buffer_load_dword v4, off, s[0:3], 0 offset:36
	buffer_load_dword v5, off, s[0:3], 0 offset:48
	buffer_load_dword v6, off, s[0:3], 0 offset:52
	buffer_load_dword v9, off, s[0:3], 0 offset:64
	buffer_load_dword v10, off, s[0:3], 0 offset:68
	buffer_load_dword v12, off, s[0:3], 0 offset:100
	buffer_load_dword v13, off, s[0:3], 0 offset:112
	buffer_load_dword v11, off, s[0:3], 0 offset:96
	buffer_load_dword v16, off, s[0:3], 0 offset:84
	buffer_load_dword v15, off, s[0:3], 0 offset:80
	buffer_load_dword v14, off, s[0:3], 0 offset:116
	v_and_b32_e32 v31, 7, v0
	v_and_b32_e32 v17, 0x3f8, v0
	v_lshlrev_b32_e32 v28, 3, v0
	s_mov_b32 s4, 0x667f3bcd
	s_mov_b32 s5, 0x3fe6a09e
	v_lshrrev_b32_e32 v32, 3, v0
	v_mad_u32_u24 v17, 0x210, v31, v17
	v_add_nc_u32_e32 v18, 0x800, v28
	v_mov_b32_e32 v0, 0
	s_mov_b32 s8, 0x54442d18
	s_mov_b32 s10, 0x54442d18
	;; [unrolled: 1-line block ×38, first 2 shown]
	s_getpc_b64 s[6:7]
	s_add_u32 s6, s6, __const._Z9fft1D_512P15HIP_vector_typeIdLj2EE.reversed@rel32@lo+8
	s_addc_u32 s7, s7, __const._Z9fft1D_512P15HIP_vector_typeIdLj2EE.reversed@rel32@hi+16
	s_waitcnt vmcnt(6)
	ds_write2_b64 v28, v[7:8], v[9:10] offset1:66
	s_waitcnt vmcnt(3)
	ds_write2_b64 v28, v[3:4], v[11:12] offset0:132 offset1:198
	s_waitcnt vmcnt(1)
	ds_write2_b64 v18, v[1:2], v[15:16] offset0:8 offset1:74
	;; [unrolled: 2-line block ×3, first 2 shown]
	s_waitcnt lgkmcnt(0)
	s_waitcnt_vscnt null, 0x0
	s_barrier
	buffer_gl0_inv
	ds_read2_b64 v[1:4], v17 offset1:8
	ds_read2_b64 v[5:8], v17 offset0:16 offset1:24
	ds_read2_b64 v[9:12], v17 offset0:32 offset1:40
	ds_read2_b64 v[13:16], v17 offset0:48 offset1:56
	s_waitcnt lgkmcnt(3)
	buffer_store_dword v2, off, s[0:3], 0 offset:4
	buffer_store_dword v1, off, s[0:3], 0
	buffer_store_dword v4, off, s[0:3], 0 offset:20
	buffer_store_dword v3, off, s[0:3], 0 offset:16
	s_waitcnt lgkmcnt(2)
	buffer_store_dword v6, off, s[0:3], 0 offset:36
	buffer_store_dword v5, off, s[0:3], 0 offset:32
	buffer_store_dword v8, off, s[0:3], 0 offset:52
	buffer_store_dword v7, off, s[0:3], 0 offset:48
	s_waitcnt lgkmcnt(1)
	buffer_store_dword v10, off, s[0:3], 0 offset:68
	buffer_store_dword v9, off, s[0:3], 0 offset:64
	;; [unrolled: 5-line block ×3, first 2 shown]
	buffer_store_dword v16, off, s[0:3], 0 offset:116
	buffer_store_dword v15, off, s[0:3], 0 offset:112
	s_waitcnt_vscnt null, 0x0
	s_barrier
	buffer_gl0_inv
	s_clause 0xf
	buffer_load_dword v2, off, s[0:3], 0 offset:76
	buffer_load_dword v4, off, s[0:3], 0 offset:108
	buffer_load_dword v6, off, s[0:3], 0 offset:124
	buffer_load_dword v5, off, s[0:3], 0 offset:120
	buffer_load_dword v3, off, s[0:3], 0 offset:104
	buffer_load_dword v8, off, s[0:3], 0 offset:92
	buffer_load_dword v7, off, s[0:3], 0 offset:88
	buffer_load_dword v1, off, s[0:3], 0 offset:72
	buffer_load_dword v9, off, s[0:3], 0 offset:8
	buffer_load_dword v10, off, s[0:3], 0 offset:12
	buffer_load_dword v11, off, s[0:3], 0 offset:24
	buffer_load_dword v12, off, s[0:3], 0 offset:28
	buffer_load_dword v13, off, s[0:3], 0 offset:40
	buffer_load_dword v14, off, s[0:3], 0 offset:44
	buffer_load_dword v15, off, s[0:3], 0 offset:56
	buffer_load_dword v16, off, s[0:3], 0 offset:60
	s_waitcnt vmcnt(6)
	ds_write2_b64 v28, v[9:10], v[1:2] offset1:66
	s_waitcnt vmcnt(2)
	ds_write2_b64 v28, v[13:14], v[3:4] offset0:132 offset1:198
	ds_write2_b64 v18, v[11:12], v[7:8] offset0:8 offset1:74
	s_waitcnt vmcnt(0)
	ds_write2_b64 v18, v[15:16], v[5:6] offset0:140 offset1:206
	s_waitcnt lgkmcnt(0)
	s_barrier
	buffer_gl0_inv
	ds_read2_b64 v[1:4], v17 offset1:8
	ds_read2_b64 v[5:8], v17 offset0:16 offset1:24
	ds_read2_b64 v[9:12], v17 offset0:32 offset1:40
	;; [unrolled: 1-line block ×3, first 2 shown]
	s_waitcnt lgkmcnt(3)
	buffer_store_dword v2, off, s[0:3], 0 offset:12
	buffer_store_dword v1, off, s[0:3], 0 offset:8
	buffer_store_dword v4, off, s[0:3], 0 offset:28
	buffer_store_dword v3, off, s[0:3], 0 offset:24
	s_waitcnt lgkmcnt(2)
	buffer_store_dword v6, off, s[0:3], 0 offset:44
	buffer_store_dword v5, off, s[0:3], 0 offset:40
	buffer_store_dword v8, off, s[0:3], 0 offset:60
	buffer_store_dword v7, off, s[0:3], 0 offset:56
	;; [unrolled: 5-line block ×4, first 2 shown]
	s_waitcnt_vscnt null, 0x0
	s_barrier
	buffer_gl0_inv
	s_clause 0x1f
	buffer_load_dword v2, off, s[0:3], 0 offset:116
	buffer_load_dword v4, off, s[0:3], 0 offset:124
	;; [unrolled: 1-line block ×12, first 2 shown]
	buffer_load_dword v13, off, s[0:3], 0
	buffer_load_dword v14, off, s[0:3], 0 offset:4
	buffer_load_dword v15, off, s[0:3], 0 offset:8
	;; [unrolled: 1-line block ×19, first 2 shown]
	s_waitcnt vmcnt(26)
	v_add_f64 v[46:47], v[5:6], -v[1:2]
	v_add_f64 v[1:2], v[5:6], v[1:2]
	s_waitcnt vmcnt(24)
	v_add_f64 v[48:49], v[7:8], -v[3:4]
	v_add_f64 v[3:4], v[7:8], v[3:4]
	;; [unrolled: 3-line block ×4, first 2 shown]
	s_waitcnt vmcnt(9)
	v_add_f64 v[7:8], v[15:16], v[21:22]
	s_waitcnt vmcnt(8)
	v_add_f64 v[5:6], v[13:14], v[23:24]
	v_add_f64 v[13:14], v[13:14], -v[23:24]
	v_add_f64 v[15:16], v[15:16], -v[21:22]
	;; [unrolled: 1-line block ×3, first 2 shown]
	v_add_f64 v[46:47], -v[48:49], -v[46:47]
	s_waitcnt vmcnt(2)
	v_add_f64 v[17:18], v[35:36], v[33:34]
	s_waitcnt vmcnt(0)
	v_add_f64 v[19:20], v[37:38], v[25:26]
	v_add_f64 v[33:34], v[35:36], -v[33:34]
	v_add_f64 v[25:26], v[37:38], -v[25:26]
	v_add_f64 v[35:36], v[50:51], v[52:53]
	v_add_f64 v[37:38], v[52:53], -v[50:51]
	v_add_f64 v[50:51], v[9:10], -v[1:2]
	;; [unrolled: 1-line block ×3, first 2 shown]
	v_add_f64 v[9:10], v[9:10], v[1:2]
	v_add_f64 v[11:12], v[11:12], v[3:4]
	v_mul_f64 v[48:49], v[54:55], s[4:5]
	v_mul_f64 v[46:47], v[46:47], s[4:5]
	v_add_f64 v[23:24], v[5:6], v[17:18]
	v_add_f64 v[54:55], v[7:8], v[19:20]
	v_add_f64 v[17:18], v[5:6], -v[17:18]
	v_fma_f64 v[56:57], v[33:34], 0, v[25:26]
	v_fma_f64 v[21:22], v[25:26], 0, -v[33:34]
	v_add_f64 v[6:7], v[7:8], -v[19:20]
	v_cvt_f64_u32_e32 v[4:5], v32
	v_fma_f64 v[58:59], v[50:51], 0, v[52:53]
	v_fma_f64 v[19:20], v[52:53], 0, -v[50:51]
	v_fma_f64 v[25:26], v[35:36], s[4:5], -v[48:49]
	;; [unrolled: 1-line block ×3, first 2 shown]
	v_fma_f64 v[35:36], v[35:36], s[4:5], v[48:49]
	v_fma_f64 v[37:38], v[37:38], s[4:5], v[46:47]
	v_add_f64 v[2:3], v[23:24], v[9:10]
	v_add_f64 v[52:53], v[13:14], v[56:57]
	;; [unrolled: 1-line block ×4, first 2 shown]
	v_add_f64 v[8:9], v[23:24], -v[9:10]
	v_add_f64 v[10:11], v[54:55], -v[11:12]
	v_add_f64 v[12:13], v[13:14], -v[56:57]
	v_add_f64 v[14:15], v[15:16], -v[21:22]
	v_fma_f64 v[23:24], v[25:26], 0, v[33:34]
	v_fma_f64 v[21:22], v[33:34], 0, -v[25:26]
	v_add_f64 v[25:26], v[17:18], v[58:59]
	v_add_f64 v[33:34], v[6:7], v[19:20]
	v_add_f64 v[16:17], v[17:18], -v[58:59]
	v_add_f64 v[6:7], v[6:7], -v[19:20]
	v_add_f64 v[18:19], v[52:53], v[35:36]
	v_add_f64 v[46:47], v[48:49], v[37:38]
	v_add_f64 v[35:36], v[52:53], -v[35:36]
	v_add_f64 v[37:38], v[48:49], -v[37:38]
	buffer_store_dword v8, off, s[0:3], 0 offset:16
	buffer_store_dword v9, off, s[0:3], 0 offset:20
	;; [unrolled: 1-line block ×4, first 2 shown]
	buffer_store_dword v2, off, s[0:3], 0
	buffer_store_dword v3, off, s[0:3], 0 offset:4
	buffer_store_dword v50, off, s[0:3], 0 offset:8
	buffer_store_dword v51, off, s[0:3], 0 offset:12
	v_add_f64 v[8:9], v[12:13], v[23:24]
	v_add_f64 v[48:49], v[14:15], v[21:22]
	v_add_f64 v[10:11], v[12:13], -v[23:24]
	v_add_f64 v[12:13], v[14:15], -v[21:22]
	buffer_store_dword v25, off, s[0:3], 0 offset:32
	buffer_store_dword v26, off, s[0:3], 0 offset:36
	;; [unrolled: 1-line block ×24, first 2 shown]
	s_branch .LBB0_12
.LBB0_11:                               ;   in Loop: Header=BB0_12 Depth=1
	s_or_b32 exec_lo, exec_lo, s4
	v_mul_f64 v[16:17], v[12:13], v[12:13]
	v_mul_f64 v[18:19], v[24:25], v[24:25]
	v_mul_f64 v[56:57], v[14:15], 0.5
	v_mul_f64 v[62:63], v[26:27], 0.5
	v_and_b32_e32 v1, 1, v33
	v_cmp_class_f64_e64 s4, v[10:11], 0x1f8
	v_lshlrev_b32_e32 v10, 30, v35
	s_add_i32 s33, s33, 16
	s_add_u32 s6, s6, 4
	v_cmp_eq_u32_e32 vcc_lo, 0, v1
	s_addc_u32 s7, s7, 0
	v_xor_b32_e32 v10, v10, v11
	s_cmpk_eq_i32 s33, 0x80
	v_and_b32_e32 v10, 0x80000000, v10
	v_fma_f64 v[20:21], v[16:17], s[42:43], s[40:41]
	v_fma_f64 v[22:23], v[18:19], s[42:43], s[40:41]
	;; [unrolled: 1-line block ×3, first 2 shown]
	v_mul_f64 v[46:47], v[16:17], 0.5
	v_fma_f64 v[48:49], v[18:19], s[26:27], s[24:25]
	v_mul_f64 v[50:51], v[18:19], 0.5
	v_mul_f64 v[58:59], v[12:13], -v[16:17]
	v_mul_f64 v[64:65], v[24:25], -v[18:19]
	v_fma_f64 v[20:21], v[16:17], v[20:21], s[44:45]
	v_fma_f64 v[22:23], v[18:19], v[22:23], s[44:45]
	v_fma_f64 v[36:37], v[16:17], v[36:37], s[28:29]
	v_add_f64 v[52:53], -v[46:47], 1.0
	v_fma_f64 v[48:49], v[18:19], v[48:49], s[28:29]
	v_add_f64 v[54:55], -v[50:51], 1.0
	v_fma_f64 v[20:21], v[16:17], v[20:21], s[46:47]
	v_fma_f64 v[22:23], v[18:19], v[22:23], s[46:47]
	;; [unrolled: 1-line block ×3, first 2 shown]
	v_add_f64 v[60:61], -v[52:53], 1.0
	v_fma_f64 v[48:49], v[18:19], v[48:49], s[30:31]
	v_add_f64 v[66:67], -v[54:55], 1.0
	v_fma_f64 v[20:21], v[16:17], v[20:21], s[48:49]
	v_fma_f64 v[22:23], v[18:19], v[22:23], s[48:49]
	;; [unrolled: 1-line block ×3, first 2 shown]
	v_add_f64 v[46:47], v[60:61], -v[46:47]
	v_fma_f64 v[48:49], v[18:19], v[48:49], s[34:35]
	v_add_f64 v[50:51], v[66:67], -v[50:51]
	v_fma_f64 v[20:21], v[58:59], v[20:21], v[56:57]
	v_fma_f64 v[22:23], v[64:65], v[22:23], v[62:63]
	v_mul_f64 v[56:57], v[16:17], v[16:17]
	v_fma_f64 v[36:37], v[16:17], v[36:37], s[36:37]
	v_fma_f64 v[46:47], v[12:13], -v[14:15], v[46:47]
	v_fma_f64 v[14:15], v[16:17], v[20:21], -v[14:15]
	v_mul_f64 v[16:17], v[18:19], v[18:19]
	v_fma_f64 v[20:21], v[18:19], v[48:49], s[36:37]
	v_fma_f64 v[48:49], v[24:25], -v[26:27], v[50:51]
	v_fma_f64 v[18:19], v[18:19], v[22:23], -v[26:27]
	v_fma_f64 v[22:23], v[56:57], v[36:37], v[46:47]
	v_fma_f64 v[14:15], v[58:59], s[38:39], v[14:15]
	;; [unrolled: 1-line block ×4, first 2 shown]
	v_add_f64 v[20:21], v[52:53], v[22:23]
	v_add_f64 v[12:13], v[12:13], -v[14:15]
	v_add_f64 v[14:15], v[54:55], v[16:17]
	v_add_f64 v[16:17], v[24:25], -v[18:19]
	v_cndmask_b32_e32 v1, v12, v20, vcc_lo
	v_and_b32_e32 v12, 1, v35
	v_cmp_eq_u32_e64 s5, 0, v12
	v_cndmask_b32_e64 v12, v15, v17, s5
	v_cndmask_b32_e64 v11, v14, v16, s5
	v_xor_b32_e32 v12, v12, v10
	v_cndmask_b32_e64 v11, 0, v11, s4
	v_cndmask_b32_e64 v10, 0, v1, s4
	v_lshlrev_b32_e32 v1, 30, v33
	v_cndmask_b32_e64 v12, 0x7ff80000, v12, s4
	v_and_b32_e32 v1, 0x80000000, v1
	s_waitcnt vmcnt(0)
	v_mul_f64 v[14:15], v[8:9], v[11:12]
	v_mul_f64 v[16:17], v[6:7], v[11:12]
	v_xor_b32_e32 v11, 0x80000000, v13
	v_cndmask_b32_e32 v11, v11, v21, vcc_lo
	v_xor_b32_e32 v1, v11, v1
	v_cndmask_b32_e64 v11, 0x7ff80000, v1, s4
	v_mov_b32_e32 v1, s50
	v_fma_f64 v[6:7], v[6:7], v[10:11], -v[14:15]
	v_fma_f64 v[8:9], v[8:9], v[10:11], v[16:17]
	buffer_store_dword v7, v1, s[0:3], 0 offen offset:4
	buffer_store_dword v6, v1, s[0:3], 0 offen
	buffer_store_dword v9, v1, s[0:3], 0 offen offset:12
	buffer_store_dword v8, v1, s[0:3], 0 offen offset:8
	s_cbranch_scc1 .LBB0_20
.LBB0_12:                               ; =>This Inner Loop Header: Depth=1
	v_mov_b32_e32 v1, s33
	s_mov_b32 s50, s33
                                        ; implicit-def: $vgpr33
                                        ; implicit-def: $vgpr12_vgpr13
                                        ; implicit-def: $vgpr14_vgpr15
	s_clause 0x3
	buffer_load_dword v6, v1, s[0:3], 0 offen
	buffer_load_dword v7, v1, s[0:3], 0 offen offset:4
	buffer_load_dword v8, v1, s[0:3], 0 offen offset:8
	;; [unrolled: 1-line block ×3, first 2 shown]
	s_load_dword s4, s[6:7], 0x0
	s_waitcnt lgkmcnt(0)
	v_cvt_f64_i32_e32 v[10:11], s4
	v_mul_f64 v[10:11], v[10:11], s[8:9]
	v_ldexp_f64 v[10:11], v[10:11], -6
	v_mul_f64 v[10:11], v[10:11], v[4:5]
	v_cmp_ngt_f64_e64 s4, 0x41d00000, |v[10:11]|
	v_trig_preop_f64 v[20:21], |v[10:11]|, 0
	v_trig_preop_f64 v[18:19], |v[10:11]|, 1
	v_ldexp_f64 v[22:23], |v[10:11]|, 0xffffff80
	v_trig_preop_f64 v[16:17], |v[10:11]|, 2
	v_and_b32_e32 v34, 0x7fffffff, v11
	s_and_saveexec_b32 s5, s4
	s_xor_b32 s5, exec_lo, s5
	s_cbranch_execz .LBB0_14
; %bb.13:                               ;   in Loop: Header=BB0_12 Depth=1
	v_cmp_le_f64_e64 vcc_lo, 0x7b000000, |v[10:11]|
	s_mov_b32 s12, s10
	s_mov_b32 s17, s15
	v_cndmask_b32_e32 v13, v34, v23, vcc_lo
	v_cndmask_b32_e32 v12, v10, v22, vcc_lo
	v_mul_f64 v[14:15], v[20:21], v[12:13]
	v_mul_f64 v[24:25], v[18:19], v[12:13]
	;; [unrolled: 1-line block ×3, first 2 shown]
	v_fma_f64 v[26:27], v[20:21], v[12:13], -v[14:15]
	v_fma_f64 v[52:53], v[18:19], v[12:13], -v[24:25]
	v_fma_f64 v[12:13], v[16:17], v[12:13], -v[50:51]
	v_add_f64 v[35:36], v[24:25], v[26:27]
	v_add_f64 v[37:38], v[35:36], -v[24:25]
	v_add_f64 v[48:49], v[14:15], v[35:36]
	v_add_f64 v[46:47], v[35:36], -v[37:38]
	v_add_f64 v[26:27], v[26:27], -v[37:38]
	v_ldexp_f64 v[37:38], v[48:49], -2
	v_add_f64 v[14:15], v[48:49], -v[14:15]
	v_add_f64 v[24:25], v[24:25], -v[46:47]
	v_add_f64 v[46:47], v[50:51], v[52:53]
	v_cmp_neq_f64_e64 vcc_lo, 0x7ff00000, |v[37:38]|
	v_add_f64 v[14:15], v[35:36], -v[14:15]
	v_add_f64 v[24:25], v[26:27], v[24:25]
	v_fract_f64_e32 v[26:27], v[37:38]
	v_add_f64 v[35:36], v[46:47], v[24:25]
	v_ldexp_f64 v[26:27], v[26:27], 2
	v_add_f64 v[37:38], v[14:15], v[35:36]
	v_cndmask_b32_e32 v27, 0, v27, vcc_lo
	v_cndmask_b32_e32 v26, 0, v26, vcc_lo
	v_add_f64 v[54:55], v[35:36], -v[46:47]
	v_add_f64 v[48:49], v[37:38], v[26:27]
	v_add_f64 v[14:15], v[37:38], -v[14:15]
	v_add_f64 v[60:61], v[35:36], -v[54:55]
	;; [unrolled: 1-line block ×3, first 2 shown]
	v_cmp_gt_f64_e32 vcc_lo, 0, v[48:49]
	v_add_f64 v[48:49], v[46:47], -v[50:51]
	v_add_f64 v[14:15], v[35:36], -v[14:15]
	v_cndmask_b32_e64 v1, 0, 0x40100000, vcc_lo
	v_add_f64 v[58:59], v[46:47], -v[48:49]
	v_add_f64 v[48:49], v[52:53], -v[48:49]
	;; [unrolled: 1-line block ×3, first 2 shown]
	v_add_f64 v[26:27], v[26:27], v[0:1]
	v_add_f64 v[52:53], v[50:51], -v[58:59]
	v_add_f64 v[24:25], v[24:25], v[46:47]
	v_add_f64 v[56:57], v[37:38], v[26:27]
	;; [unrolled: 1-line block ×3, first 2 shown]
	v_cvt_i32_f64_e32 v1, v[56:57]
	v_add_f64 v[24:25], v[48:49], v[24:25]
	v_cvt_f64_i32_e32 v[54:55], v1
	v_add_f64 v[12:13], v[12:13], v[24:25]
	v_add_f64 v[26:27], v[26:27], -v[54:55]
	v_add_f64 v[12:13], v[14:15], v[12:13]
	v_add_f64 v[46:47], v[37:38], v[26:27]
	v_add_f64 v[24:25], v[46:47], -v[26:27]
	v_cmp_le_f64_e32 vcc_lo, 0.5, v[46:47]
	v_add_f64 v[14:15], v[37:38], -v[24:25]
	v_add_co_ci_u32_e64 v33, null, 0, v1, vcc_lo
	v_cndmask_b32_e64 v1, 0, 0x3ff00000, vcc_lo
	v_add_f64 v[12:13], v[12:13], v[14:15]
	v_add_f64 v[14:15], v[46:47], -v[0:1]
	v_add_f64 v[24:25], v[14:15], v[12:13]
	v_mul_f64 v[26:27], v[24:25], s[12:13]
	v_add_f64 v[14:15], v[24:25], -v[14:15]
	v_fma_f64 v[35:36], v[24:25], s[12:13], -v[26:27]
	v_add_f64 v[12:13], v[12:13], -v[14:15]
	v_fma_f64 v[14:15], v[24:25], s[16:17], v[35:36]
	v_fma_f64 v[14:15], v[12:13], s[12:13], v[14:15]
	v_add_f64 v[12:13], v[26:27], v[14:15]
	v_add_f64 v[24:25], v[12:13], -v[26:27]
	v_add_f64 v[14:15], v[14:15], -v[24:25]
	s_andn2_saveexec_b32 s5, s5
	s_cbranch_execz .LBB0_16
	s_branch .LBB0_15
.LBB0_14:                               ;   in Loop: Header=BB0_12 Depth=1
	s_andn2_saveexec_b32 s5, s5
	s_cbranch_execz .LBB0_16
.LBB0_15:                               ;   in Loop: Header=BB0_12 Depth=1
	v_mul_f64 v[12:13], |v[10:11]|, s[18:19]
	s_mov_b32 s14, s20
	v_rndne_f64_e32 v[24:25], v[12:13]
	v_fma_f64 v[12:13], v[24:25], s[10:11], |v[10:11]|
	v_mul_f64 v[14:15], v[24:25], s[20:21]
	v_cvt_i32_f64_e32 v33, v[24:25]
	v_fma_f64 v[35:36], v[24:25], s[20:21], v[12:13]
	v_add_f64 v[26:27], v[12:13], v[14:15]
	v_add_f64 v[12:13], v[12:13], -v[26:27]
	v_add_f64 v[26:27], v[26:27], -v[35:36]
	v_add_f64 v[12:13], v[12:13], v[14:15]
	v_fma_f64 v[14:15], v[24:25], s[14:15], v[14:15]
	v_add_f64 v[12:13], v[26:27], v[12:13]
	v_add_f64 v[12:13], v[12:13], -v[14:15]
	v_fma_f64 v[14:15], v[24:25], s[22:23], v[12:13]
	v_add_f64 v[12:13], v[35:36], v[14:15]
	v_add_f64 v[26:27], v[12:13], -v[35:36]
	v_add_f64 v[14:15], v[14:15], -v[26:27]
.LBB0_16:                               ;   in Loop: Header=BB0_12 Depth=1
	s_or_b32 exec_lo, exec_lo, s5
                                        ; implicit-def: $vgpr35
                                        ; implicit-def: $vgpr24_vgpr25
                                        ; implicit-def: $vgpr26_vgpr27
	s_and_saveexec_b32 s5, s4
	s_xor_b32 s4, exec_lo, s5
	s_cbranch_execz .LBB0_18
; %bb.17:                               ;   in Loop: Header=BB0_12 Depth=1
	v_cmp_le_f64_e64 vcc_lo, 0x7b000000, |v[10:11]|
	s_mov_b32 s12, s10
	s_mov_b32 s17, s15
	v_cndmask_b32_e32 v23, v34, v23, vcc_lo
	v_cndmask_b32_e32 v22, v10, v22, vcc_lo
	v_mul_f64 v[24:25], v[20:21], v[22:23]
	v_mul_f64 v[26:27], v[18:19], v[22:23]
	;; [unrolled: 1-line block ×3, first 2 shown]
	v_fma_f64 v[20:21], v[20:21], v[22:23], -v[24:25]
	v_fma_f64 v[18:19], v[18:19], v[22:23], -v[26:27]
	;; [unrolled: 1-line block ×3, first 2 shown]
	v_add_f64 v[34:35], v[26:27], v[20:21]
	v_add_f64 v[36:37], v[34:35], -v[26:27]
	v_add_f64 v[48:49], v[24:25], v[34:35]
	v_add_f64 v[46:47], v[34:35], -v[36:37]
	v_add_f64 v[20:21], v[20:21], -v[36:37]
	v_ldexp_f64 v[36:37], v[48:49], -2
	v_add_f64 v[24:25], v[48:49], -v[24:25]
	v_add_f64 v[26:27], v[26:27], -v[46:47]
	v_add_f64 v[46:47], v[50:51], v[18:19]
	v_cmp_neq_f64_e64 vcc_lo, 0x7ff00000, |v[36:37]|
	v_add_f64 v[24:25], v[34:35], -v[24:25]
	v_add_f64 v[20:21], v[20:21], v[26:27]
	v_fract_f64_e32 v[26:27], v[36:37]
	v_add_f64 v[34:35], v[46:47], v[20:21]
	v_ldexp_f64 v[26:27], v[26:27], 2
	v_add_f64 v[36:37], v[24:25], v[34:35]
	v_cndmask_b32_e32 v27, 0, v27, vcc_lo
	v_cndmask_b32_e32 v26, 0, v26, vcc_lo
	v_add_f64 v[52:53], v[34:35], -v[46:47]
	v_add_f64 v[48:49], v[36:37], v[26:27]
	v_add_f64 v[22:23], v[36:37], -v[24:25]
	v_add_f64 v[58:59], v[34:35], -v[52:53]
	;; [unrolled: 1-line block ×3, first 2 shown]
	v_cmp_gt_f64_e32 vcc_lo, 0, v[48:49]
	v_add_f64 v[48:49], v[46:47], -v[50:51]
	v_add_f64 v[22:23], v[34:35], -v[22:23]
	v_cndmask_b32_e64 v1, 0, 0x40100000, vcc_lo
	v_add_f64 v[56:57], v[46:47], -v[48:49]
	v_add_f64 v[18:19], v[18:19], -v[48:49]
	;; [unrolled: 1-line block ×3, first 2 shown]
	v_add_f64 v[26:27], v[26:27], v[0:1]
	v_add_f64 v[48:49], v[50:51], -v[56:57]
	v_add_f64 v[20:21], v[20:21], v[46:47]
	v_add_f64 v[54:55], v[36:37], v[26:27]
	v_add_f64 v[18:19], v[18:19], v[48:49]
	v_cvt_i32_f64_e32 v1, v[54:55]
	v_add_f64 v[18:19], v[18:19], v[20:21]
	v_cvt_f64_i32_e32 v[52:53], v1
	v_add_f64 v[16:17], v[16:17], v[18:19]
	v_add_f64 v[26:27], v[26:27], -v[52:53]
	v_add_f64 v[16:17], v[22:23], v[16:17]
	v_add_f64 v[20:21], v[36:37], v[26:27]
	v_add_f64 v[18:19], v[20:21], -v[26:27]
	v_cmp_le_f64_e32 vcc_lo, 0.5, v[20:21]
	v_add_f64 v[18:19], v[36:37], -v[18:19]
	v_add_co_ci_u32_e64 v35, null, 0, v1, vcc_lo
	v_cndmask_b32_e64 v1, 0, 0x3ff00000, vcc_lo
	v_add_f64 v[16:17], v[16:17], v[18:19]
	v_add_f64 v[18:19], v[20:21], -v[0:1]
	v_add_f64 v[20:21], v[18:19], v[16:17]
	v_mul_f64 v[22:23], v[20:21], s[12:13]
	v_add_f64 v[18:19], v[20:21], -v[18:19]
	v_fma_f64 v[24:25], v[20:21], s[12:13], -v[22:23]
	v_add_f64 v[16:17], v[16:17], -v[18:19]
	v_fma_f64 v[18:19], v[20:21], s[16:17], v[24:25]
	v_fma_f64 v[16:17], v[16:17], s[12:13], v[18:19]
	v_add_f64 v[24:25], v[22:23], v[16:17]
	v_add_f64 v[18:19], v[24:25], -v[22:23]
	v_add_f64 v[26:27], v[16:17], -v[18:19]
	s_andn2_saveexec_b32 s4, s4
	s_cbranch_execz .LBB0_11
	s_branch .LBB0_19
.LBB0_18:                               ;   in Loop: Header=BB0_12 Depth=1
	s_andn2_saveexec_b32 s4, s4
	s_cbranch_execz .LBB0_11
.LBB0_19:                               ;   in Loop: Header=BB0_12 Depth=1
	v_mul_f64 v[16:17], |v[10:11]|, s[18:19]
	s_mov_b32 s14, s20
	v_rndne_f64_e32 v[16:17], v[16:17]
	v_fma_f64 v[18:19], v[16:17], s[10:11], |v[10:11]|
	v_mul_f64 v[20:21], v[16:17], s[20:21]
	v_cvt_i32_f64_e32 v35, v[16:17]
	v_fma_f64 v[26:27], v[16:17], s[20:21], v[18:19]
	v_add_f64 v[22:23], v[18:19], v[20:21]
	v_add_f64 v[18:19], v[18:19], -v[22:23]
	v_add_f64 v[22:23], v[22:23], -v[26:27]
	v_add_f64 v[18:19], v[18:19], v[20:21]
	v_fma_f64 v[20:21], v[16:17], s[14:15], v[20:21]
	v_add_f64 v[18:19], v[22:23], v[18:19]
	v_add_f64 v[18:19], v[18:19], -v[20:21]
	v_fma_f64 v[18:19], v[16:17], s[22:23], v[18:19]
	v_add_f64 v[24:25], v[26:27], v[18:19]
	v_add_f64 v[20:21], v[24:25], -v[26:27]
	v_add_f64 v[26:27], v[18:19], -v[20:21]
	s_branch .LBB0_11
.LBB0_20:
	s_clause 0xd
	buffer_load_dword v0, off, s[0:3], 0 offset:16
	buffer_load_dword v1, off, s[0:3], 0 offset:20
	;; [unrolled: 1-line block ×14, first 2 shown]
	v_mul_u32_u24_e32 v16, 0x240, v32
	v_add_nc_u32_e32 v17, 0x800, v28
	s_mov_b32 s4, 0x667f3bcd
	s_mov_b32 s5, 0x3fe6a09e
	s_waitcnt vmcnt(6)
	ds_write2_b64 v28, v[2:3], v[8:9] offset1:72
	s_waitcnt vmcnt(3)
	ds_write2_b64 v28, v[4:5], v[10:11] offset0:144 offset1:216
	s_waitcnt vmcnt(1)
	ds_write2_b64 v17, v[0:1], v[14:15] offset0:32 offset1:104
	;; [unrolled: 2-line block ×3, first 2 shown]
	v_lshl_or_b32 v35, v31, 3, v16
	s_waitcnt lgkmcnt(0)
	s_waitcnt_vscnt null, 0x0
	s_barrier
	buffer_gl0_inv
	ds_read2_b64 v[0:3], v35 offset1:8
	ds_read2_b64 v[4:7], v35 offset0:16 offset1:24
	ds_read2_b64 v[8:11], v35 offset0:32 offset1:40
	;; [unrolled: 1-line block ×3, first 2 shown]
	s_waitcnt lgkmcnt(3)
	buffer_store_dword v1, off, s[0:3], 0 offset:4
	buffer_store_dword v0, off, s[0:3], 0
	buffer_store_dword v3, off, s[0:3], 0 offset:20
	buffer_store_dword v2, off, s[0:3], 0 offset:16
	s_waitcnt lgkmcnt(2)
	buffer_store_dword v5, off, s[0:3], 0 offset:36
	buffer_store_dword v4, off, s[0:3], 0 offset:32
	buffer_store_dword v7, off, s[0:3], 0 offset:52
	buffer_store_dword v6, off, s[0:3], 0 offset:48
	s_waitcnt lgkmcnt(1)
	buffer_store_dword v9, off, s[0:3], 0 offset:68
	buffer_store_dword v8, off, s[0:3], 0 offset:64
	;; [unrolled: 5-line block ×3, first 2 shown]
	buffer_store_dword v15, off, s[0:3], 0 offset:116
	buffer_store_dword v14, off, s[0:3], 0 offset:112
	s_waitcnt_vscnt null, 0x0
	s_barrier
	buffer_gl0_inv
	s_clause 0xf
	buffer_load_dword v1, off, s[0:3], 0 offset:76
	buffer_load_dword v3, off, s[0:3], 0 offset:108
	;; [unrolled: 1-line block ×16, first 2 shown]
	s_waitcnt vmcnt(6)
	ds_write2_b64 v28, v[8:9], v[0:1] offset1:72
	s_waitcnt vmcnt(2)
	ds_write2_b64 v28, v[12:13], v[2:3] offset0:144 offset1:216
	ds_write2_b64 v17, v[10:11], v[6:7] offset0:32 offset1:104
	s_waitcnt vmcnt(0)
	ds_write2_b64 v17, v[14:15], v[4:5] offset0:176 offset1:248
	s_waitcnt lgkmcnt(0)
	s_barrier
	buffer_gl0_inv
	s_clause 0xf
	buffer_load_dword v17, off, s[0:3], 0 offset:116
	buffer_load_dword v19, off, s[0:3], 0 offset:52
	;; [unrolled: 1-line block ×12, first 2 shown]
	buffer_load_dword v31, off, s[0:3], 0
	buffer_load_dword v32, off, s[0:3], 0 offset:4
	buffer_load_dword v34, off, s[0:3], 0 offset:68
	;; [unrolled: 1-line block ×3, first 2 shown]
	ds_read2_b64 v[0:3], v35 offset1:8
	ds_read2_b64 v[4:7], v35 offset0:32 offset1:40
	ds_read2_b64 v[8:11], v35 offset0:16 offset1:24
	;; [unrolled: 1-line block ×3, first 2 shown]
	s_waitcnt lgkmcnt(2)
	v_add_f64 v[37:38], v[2:3], v[6:7]
	v_add_f64 v[2:3], v[2:3], -v[6:7]
	s_waitcnt lgkmcnt(0)
	v_add_f64 v[48:49], v[10:11], v[14:15]
	v_add_f64 v[14:15], v[10:11], -v[14:15]
	v_add_f64 v[46:47], v[8:9], v[12:13]
	v_add_f64 v[8:9], v[8:9], -v[12:13]
	;; [unrolled: 2-line block ×3, first 2 shown]
	v_add_f64 v[52:53], v[37:38], v[48:49]
	v_add_f64 v[50:51], v[35:36], v[46:47]
	;; [unrolled: 1-line block ×3, first 2 shown]
	buffer_store_dword v54, off, s[0:3], 0 offset:8
	buffer_load_dword v10, off, s[0:3], 0 offset:8
	buffer_store_dword v55, off, s[0:3], 0 offset:12
	s_waitcnt vmcnt(13)
	v_add_f64 v[56:57], v[18:19], -v[16:17]
	v_add_f64 v[16:17], v[18:19], v[16:17]
	s_waitcnt vmcnt(8)
	v_add_f64 v[6:7], v[20:21], -v[22:23]
	v_add_f64 v[58:59], v[20:21], v[22:23]
	;; [unrolled: 3-line block ×3, first 2 shown]
	v_add_f64 v[24:25], v[37:38], -v[48:49]
	s_waitcnt vmcnt(1)
	v_add_f64 v[20:21], v[31:32], v[33:34]
	v_add_f64 v[4:5], v[31:32], -v[33:34]
	v_add_f64 v[33:34], v[35:36], -v[46:47]
	;; [unrolled: 1-line block ×3, first 2 shown]
	v_add_f64 v[13:14], -v[14:15], -v[56:57]
	v_add_f64 v[31:32], v[6:7], v[2:3]
	v_add_f64 v[2:3], v[2:3], -v[6:7]
	v_add_f64 v[26:27], v[58:59], -v[16:17]
	v_fma_f64 v[6:7], v[11:12], 0, v[8:9]
	v_fma_f64 v[8:9], v[8:9], 0, -v[11:12]
	v_add_f64 v[15:16], v[58:59], v[16:17]
	v_mul_f64 v[18:19], v[18:19], s[4:5]
	v_mul_f64 v[11:12], v[13:14], s[4:5]
	v_add_f64 v[13:14], v[20:21], v[22:23]
	v_add_f64 v[20:21], v[20:21], -v[22:23]
	v_fma_f64 v[22:23], v[26:27], 0, v[24:25]
	v_fma_f64 v[24:25], v[24:25], 0, -v[26:27]
	v_add_f64 v[35:36], v[4:5], v[6:7]
	v_add_f64 v[26:27], v[50:51], -v[52:53]
	v_add_f64 v[46:47], v[0:1], v[8:9]
	v_add_f64 v[4:5], v[4:5], -v[6:7]
	v_add_f64 v[0:1], v[0:1], -v[8:9]
	v_fma_f64 v[37:38], v[31:32], s[4:5], v[18:19]
	v_fma_f64 v[48:49], v[2:3], s[4:5], v[11:12]
	v_fma_f64 v[17:18], v[31:32], s[4:5], -v[18:19]
	v_fma_f64 v[2:3], v[2:3], s[4:5], -v[11:12]
	v_add_f64 v[11:12], v[13:14], v[15:16]
	v_add_f64 v[13:14], v[13:14], -v[15:16]
	v_add_f64 v[15:16], v[20:21], v[22:23]
	v_add_f64 v[31:32], v[33:34], v[24:25]
	v_add_f64 v[19:20], v[20:21], -v[22:23]
	v_add_f64 v[21:22], v[33:34], -v[24:25]
	buffer_store_dword v27, off, s[0:3], 0 offset:28
	v_add_f64 v[23:24], v[35:36], v[37:38]
	v_add_f64 v[27:28], v[46:47], v[48:49]
	v_add_f64 v[6:7], v[35:36], -v[37:38]
	v_fma_f64 v[8:9], v[17:18], 0, v[2:3]
	v_fma_f64 v[2:3], v[2:3], 0, -v[17:18]
	v_add_f64 v[33:34], v[46:47], -v[48:49]
	buffer_store_dword v26, off, s[0:3], 0 offset:24
	buffer_store_dword v11, off, s[0:3], 0
	buffer_store_dword v12, off, s[0:3], 0 offset:4
	buffer_store_dword v14, off, s[0:3], 0 offset:20
	;; [unrolled: 1-line block ×17, first 2 shown]
	v_add_co_u32 v35, vcc_lo, v29, 0xc00
	v_add_co_ci_u32_e64 v36, null, 0, v30, vcc_lo
	v_add_co_u32 v37, vcc_lo, v29, 0x1c00
	v_add_co_ci_u32_e64 v38, null, 0, v30, vcc_lo
	v_add_f64 v[6:7], v[4:5], v[8:9]
	v_add_f64 v[21:22], v[0:1], v[2:3]
	v_add_f64 v[23:24], v[4:5], -v[8:9]
	v_add_f64 v[25:26], v[0:1], -v[2:3]
	buffer_store_dword v34, off, s[0:3], 0 offset:92
	buffer_store_dword v33, off, s[0:3], 0 offset:88
	s_clause 0xf
	buffer_load_dword v8, off, s[0:3], 0
	buffer_load_dword v9, off, s[0:3], 0 offset:4
	buffer_load_dword v11, off, s[0:3], 0 offset:12
	buffer_load_dword v3, v42, s[0:3], 0 offen offset:12
	buffer_load_dword v4, v40, s[0:3], 0 offen
	buffer_load_dword v2, v42, s[0:3], 0 offen offset:8
	buffer_load_dword v1, v42, s[0:3], 0 offen offset:4
	buffer_load_dword v0, v42, s[0:3], 0 offen
	buffer_load_dword v13, v41, s[0:3], 0 offen offset:4
	buffer_load_dword v14, v41, s[0:3], 0 offen offset:8
	;; [unrolled: 1-line block ×3, first 2 shown]
	buffer_load_dword v16, v45, s[0:3], 0 offen
	buffer_load_dword v17, v45, s[0:3], 0 offen offset:4
	buffer_load_dword v18, v45, s[0:3], 0 offen offset:8
	;; [unrolled: 1-line block ×3, first 2 shown]
	buffer_load_dword v20, v39, s[0:3], 0 offen
	buffer_store_dword v7, off, s[0:3], 0 offset:100
	buffer_store_dword v6, off, s[0:3], 0 offset:96
	;; [unrolled: 1-line block ×8, first 2 shown]
	s_clause 0xe
	buffer_load_dword v7, v40, s[0:3], 0 offen offset:12
	buffer_load_dword v24, v44, s[0:3], 0 offen
	buffer_load_dword v25, v44, s[0:3], 0 offen offset:4
	buffer_load_dword v26, v44, s[0:3], 0 offen offset:8
	;; [unrolled: 1-line block ×3, first 2 shown]
	buffer_load_dword v12, v41, s[0:3], 0 offen
	buffer_load_dword v6, v40, s[0:3], 0 offen offset:8
	buffer_load_dword v5, v40, s[0:3], 0 offen offset:4
	;; [unrolled: 1-line block ×5, first 2 shown]
	buffer_load_dword v31, v43, s[0:3], 0 offen
	buffer_load_dword v32, v43, s[0:3], 0 offen offset:4
	buffer_load_dword v33, v43, s[0:3], 0 offen offset:8
	;; [unrolled: 1-line block ×3, first 2 shown]
	s_waitcnt vmcnt(28)
	global_store_dwordx4 v[29:30], v[8:11], off
	s_waitcnt vmcnt(23)
	global_store_dwordx4 v[35:36], v[0:3], off offset:-2048
	s_waitcnt vmcnt(16)
	global_store_dwordx4 v[37:38], v[16:19], off offset:-2048
	;; [unrolled: 2-line block ×3, first 2 shown]
	global_store_dwordx4 v[35:36], v[4:7], off offset:-1024
	global_store_dwordx4 v[35:36], v[24:27], off
	global_store_dwordx4 v[35:36], v[12:15], off offset:1024
	s_waitcnt vmcnt(0)
	global_store_dwordx4 v[37:38], v[31:34], off
	s_endpgm
	.section	.rodata,"a",@progbits
	.p2align	6, 0x0
	.amdhsa_kernel _Z9fft1D_512P15HIP_vector_typeIdLj2EE
		.amdhsa_group_segment_fixed_size 4608
		.amdhsa_private_segment_fixed_size 144
		.amdhsa_kernarg_size 8
		.amdhsa_user_sgpr_count 6
		.amdhsa_user_sgpr_private_segment_buffer 1
		.amdhsa_user_sgpr_dispatch_ptr 0
		.amdhsa_user_sgpr_queue_ptr 0
		.amdhsa_user_sgpr_kernarg_segment_ptr 1
		.amdhsa_user_sgpr_dispatch_id 0
		.amdhsa_user_sgpr_flat_scratch_init 0
		.amdhsa_user_sgpr_private_segment_size 0
		.amdhsa_wavefront_size32 1
		.amdhsa_uses_dynamic_stack 0
		.amdhsa_system_sgpr_private_segment_wavefront_offset 1
		.amdhsa_system_sgpr_workgroup_id_x 1
		.amdhsa_system_sgpr_workgroup_id_y 0
		.amdhsa_system_sgpr_workgroup_id_z 0
		.amdhsa_system_sgpr_workgroup_info 0
		.amdhsa_system_vgpr_workitem_id 0
		.amdhsa_next_free_vgpr 72
		.amdhsa_next_free_sgpr 51
		.amdhsa_reserve_vcc 1
		.amdhsa_reserve_flat_scratch 0
		.amdhsa_float_round_mode_32 0
		.amdhsa_float_round_mode_16_64 0
		.amdhsa_float_denorm_mode_32 3
		.amdhsa_float_denorm_mode_16_64 3
		.amdhsa_dx10_clamp 1
		.amdhsa_ieee_mode 1
		.amdhsa_fp16_overflow 0
		.amdhsa_workgroup_processor_mode 1
		.amdhsa_memory_ordered 1
		.amdhsa_forward_progress 1
		.amdhsa_shared_vgpr_count 0
		.amdhsa_exception_fp_ieee_invalid_op 0
		.amdhsa_exception_fp_denorm_src 0
		.amdhsa_exception_fp_ieee_div_zero 0
		.amdhsa_exception_fp_ieee_overflow 0
		.amdhsa_exception_fp_ieee_underflow 0
		.amdhsa_exception_fp_ieee_inexact 0
		.amdhsa_exception_int_div_zero 0
	.end_amdhsa_kernel
	.text
.Lfunc_end0:
	.size	_Z9fft1D_512P15HIP_vector_typeIdLj2EE, .Lfunc_end0-_Z9fft1D_512P15HIP_vector_typeIdLj2EE
                                        ; -- End function
	.set _Z9fft1D_512P15HIP_vector_typeIdLj2EE.num_vgpr, 72
	.set _Z9fft1D_512P15HIP_vector_typeIdLj2EE.num_agpr, 0
	.set _Z9fft1D_512P15HIP_vector_typeIdLj2EE.numbered_sgpr, 51
	.set _Z9fft1D_512P15HIP_vector_typeIdLj2EE.num_named_barrier, 0
	.set _Z9fft1D_512P15HIP_vector_typeIdLj2EE.private_seg_size, 144
	.set _Z9fft1D_512P15HIP_vector_typeIdLj2EE.uses_vcc, 1
	.set _Z9fft1D_512P15HIP_vector_typeIdLj2EE.uses_flat_scratch, 0
	.set _Z9fft1D_512P15HIP_vector_typeIdLj2EE.has_dyn_sized_stack, 0
	.set _Z9fft1D_512P15HIP_vector_typeIdLj2EE.has_recursion, 0
	.set _Z9fft1D_512P15HIP_vector_typeIdLj2EE.has_indirect_call, 0
	.section	.AMDGPU.csdata,"",@progbits
; Kernel info:
; codeLenInByte = 10068
; TotalNumSgprs: 53
; NumVgprs: 72
; ScratchSize: 144
; MemoryBound: 0
; FloatMode: 240
; IeeeMode: 1
; LDSByteSize: 4608 bytes/workgroup (compile time only)
; SGPRBlocks: 0
; VGPRBlocks: 8
; NumSGPRsForWavesPerEU: 53
; NumVGPRsForWavesPerEU: 72
; Occupancy: 12
; WaveLimiterHint : 1
; COMPUTE_PGM_RSRC2:SCRATCH_EN: 1
; COMPUTE_PGM_RSRC2:USER_SGPR: 6
; COMPUTE_PGM_RSRC2:TRAP_HANDLER: 0
; COMPUTE_PGM_RSRC2:TGID_X_EN: 1
; COMPUTE_PGM_RSRC2:TGID_Y_EN: 0
; COMPUTE_PGM_RSRC2:TGID_Z_EN: 0
; COMPUTE_PGM_RSRC2:TIDIG_COMP_CNT: 0
	.text
	.protected	_Z10ifft1D_512P15HIP_vector_typeIdLj2EE ; -- Begin function _Z10ifft1D_512P15HIP_vector_typeIdLj2EE
	.globl	_Z10ifft1D_512P15HIP_vector_typeIdLj2EE
	.p2align	8
	.type	_Z10ifft1D_512P15HIP_vector_typeIdLj2EE,@function
_Z10ifft1D_512P15HIP_vector_typeIdLj2EE: ; @_Z10ifft1D_512P15HIP_vector_typeIdLj2EE
; %bb.0:
	s_load_dwordx2 s[4:5], s[4:5], 0x0
	v_lshl_add_u32 v1, s6, 9, v0
	s_add_u32 s0, s0, s7
	s_addc_u32 s1, s1, 0
	s_mov_b32 s48, 0x667f3bcd
	s_mov_b32 s49, 0x3fe6a09e
	v_ashrrev_i32_e32 v2, 31, v1
	s_movk_i32 s12, 0x60
	s_movk_i32 s15, 0x70
	v_mov_b32_e32 v41, 16
	v_mov_b32_e32 v40, 32
	v_lshlrev_b64 v[1:2], 4, v[1:2]
	v_mov_b32_e32 v39, 48
	v_mov_b32_e32 v42, 64
	s_mov_b32 s8, 0x54442d18
	s_mov_b32 s10, 0x54442d18
	;; [unrolled: 1-line block ×6, first 2 shown]
	s_waitcnt lgkmcnt(0)
	v_add_co_u32 v29, vcc_lo, s4, v1
	v_add_co_ci_u32_e64 v30, null, s5, v2, vcc_lo
	s_movk_i32 s4, 0x50
	v_add_co_u32 v1, vcc_lo, 0x800, v29
	global_load_dwordx4 v[31:34], v[29:30], off
	v_add_co_ci_u32_e64 v2, null, 0, v30, vcc_lo
	v_add_co_u32 v5, vcc_lo, 0x1800, v29
	v_add_co_ci_u32_e64 v6, null, 0, v30, vcc_lo
	s_clause 0x1
	global_load_dwordx4 v[9:12], v[1:2], off offset:1024
	global_load_dwordx4 v[1:4], v[5:6], off offset:1024
	v_add_co_u32 v7, vcc_lo, 0x1000, v29
	v_add_co_ci_u32_e64 v8, null, 0, v30, vcc_lo
	s_clause 0x1
	global_load_dwordx4 v[25:28], v[29:30], off offset:1024
	global_load_dwordx4 v[17:20], v[7:8], off offset:1024
	v_add_co_u32 v13, vcc_lo, v29, 0x1000
	v_add_co_ci_u32_e64 v14, null, 0, v30, vcc_lo
	s_clause 0x2
	global_load_dwordx4 v[5:8], v[5:6], off
	global_load_dwordx4 v[21:24], v[13:14], off offset:-2048
	global_load_dwordx4 v[13:16], v[13:14], off
	v_mov_b32_e32 v45, s4
	s_mov_b32 s24, 0x46cc5e42
	s_mov_b32 s26, 0xa17f65f6
	;; [unrolled: 1-line block ×32, first 2 shown]
	s_getpc_b64 s[6:7]
	s_add_u32 s6, s6, __const._Z10ifft1D_512P15HIP_vector_typeIdLj2EE.reversed@rel32@lo+8
	s_addc_u32 s7, s7, __const._Z10ifft1D_512P15HIP_vector_typeIdLj2EE.reversed@rel32@hi+16
	s_waitcnt vmcnt(7)
	buffer_store_dword v34, off, s[0:3], 0 offset:12
	buffer_store_dword v33, off, s[0:3], 0 offset:8
	;; [unrolled: 1-line block ×3, first 2 shown]
	buffer_store_dword v31, off, s[0:3], 0
	s_clause 0x3
	buffer_load_dword v35, off, s[0:3], 0
	buffer_load_dword v36, off, s[0:3], 0 offset:4
	buffer_load_dword v37, off, s[0:3], 0 offset:8
	;; [unrolled: 1-line block ×3, first 2 shown]
	v_mov_b32_e32 v31, 0
	s_waitcnt vmcnt(9)
	v_add_f64 v[32:33], v[9:10], -v[1:2]
	v_add_f64 v[43:44], v[11:12], -v[3:4]
	v_add_f64 v[58:59], v[9:10], v[1:2]
	v_add_f64 v[60:61], v[11:12], v[3:4]
	s_waitcnt vmcnt(8)
	buffer_store_dword v28, off, s[0:3], 0 offset:28
	s_waitcnt vmcnt(7)
	v_add_f64 v[46:47], v[25:26], -v[17:18]
	v_add_f64 v[48:49], v[27:28], -v[19:20]
	v_add_f64 v[54:55], v[25:26], v[17:18]
	v_add_f64 v[56:57], v[27:28], v[19:20]
	buffer_store_dword v27, off, s[0:3], 0 offset:24
	buffer_store_dword v26, off, s[0:3], 0 offset:20
	;; [unrolled: 1-line block ×3, first 2 shown]
	s_waitcnt vmcnt(5)
	buffer_store_dword v24, off, s[0:3], 0 offset:44
	v_add_f64 v[62:63], v[21:22], -v[5:6]
	v_add_f64 v[64:65], v[23:24], -v[7:8]
	v_add_f64 v[25:26], v[21:22], v[5:6]
	buffer_store_dword v23, off, s[0:3], 0 offset:40
	buffer_store_dword v22, off, s[0:3], 0 offset:36
	;; [unrolled: 1-line block ×7, first 2 shown]
	s_waitcnt vmcnt(4)
	buffer_store_dword v16, off, s[0:3], 0 offset:76
	buffer_store_dword v15, off, s[0:3], 0 offset:72
	;; [unrolled: 1-line block ×10, first 2 shown]
	v_add_f64 v[50:51], -v[32:33], -v[43:44]
	v_add_f64 v[52:53], v[32:33], -v[43:44]
	v_cvt_f64_u32_e32 v[33:34], v0
	buffer_store_dword v6, off, s[0:3], 0 offset:100
	buffer_store_dword v5, off, s[0:3], 0 offset:96
	;; [unrolled: 1-line block ×4, first 2 shown]
	v_add_f64 v[66:67], v[46:47], -v[48:49]
	v_add_f64 v[46:47], v[46:47], v[48:49]
	v_add_f64 v[21:22], v[54:55], -v[58:59]
	buffer_store_dword v2, off, s[0:3], 0 offset:116
	buffer_store_dword v1, off, s[0:3], 0 offset:112
	v_mov_b32_e32 v44, s12
	v_mov_b32_e32 v43, s15
	v_fma_f64 v[10:11], v[62:63], 0, -v[64:65]
	v_fma_f64 v[62:63], v[64:65], 0, v[62:63]
	v_mul_f64 v[50:51], v[50:51], s[48:49]
	v_mul_f64 v[48:49], v[52:53], s[48:49]
	v_add_f64 v[52:53], v[23:24], v[7:8]
	v_add_f64 v[23:24], v[56:57], -v[60:61]
	v_add_f64 v[56:57], v[56:57], v[60:61]
	v_fma_f64 v[64:65], v[66:67], s[48:49], -v[50:51]
	v_fma_f64 v[70:71], v[46:47], s[48:49], -v[48:49]
	v_fma_f64 v[17:18], v[21:22], 0, -v[23:24]
	v_fma_f64 v[21:22], v[23:24], 0, v[21:22]
	s_waitcnt vmcnt(2)
	v_add_f64 v[27:28], v[35:36], v[13:14]
	v_add_f64 v[35:36], v[35:36], -v[13:14]
	s_waitcnt vmcnt(0)
	v_add_f64 v[68:69], v[37:38], v[15:16]
	v_add_f64 v[37:38], v[37:38], -v[15:16]
	v_add_f64 v[15:16], v[54:55], v[58:59]
	v_fma_f64 v[12:13], v[66:67], s[48:49], v[50:51]
	v_fma_f64 v[50:51], v[70:71], 0, v[64:65]
	v_add_f64 v[54:55], v[27:28], v[25:26]
	v_add_f64 v[19:20], v[27:28], -v[25:26]
	v_add_f64 v[58:59], v[68:69], v[52:53]
	v_add_f64 v[23:24], v[68:69], -v[52:53]
	v_add_f64 v[27:28], v[35:36], v[10:11]
	v_fma_f64 v[25:26], v[46:47], s[48:49], v[48:49]
	v_add_f64 v[46:47], v[37:38], v[62:63]
	v_fma_f64 v[48:49], v[64:65], 0, -v[70:71]
	v_add_f64 v[9:10], v[35:36], -v[10:11]
	v_add_f64 v[35:36], v[37:38], -v[62:63]
	v_add_f64 v[7:8], v[54:55], v[15:16]
	v_add_f64 v[5:6], v[54:55], -v[15:16]
	v_add_f64 v[37:38], v[58:59], v[56:57]
	;; [unrolled: 2-line block ×3, first 2 shown]
	v_add_f64 v[52:53], v[23:24], v[21:22]
	v_add_f64 v[1:2], v[19:20], -v[17:18]
	v_add_f64 v[16:17], v[23:24], -v[21:22]
	v_add_f64 v[18:19], v[27:28], v[12:13]
	v_add_f64 v[20:21], v[46:47], v[25:26]
	v_add_f64 v[11:12], v[27:28], -v[12:13]
	v_add_f64 v[22:23], v[46:47], -v[25:26]
	v_add_f64 v[24:25], v[9:10], v[48:49]
	v_add_f64 v[26:27], v[35:36], v[50:51]
	v_add_f64 v[9:10], v[9:10], -v[48:49]
	v_add_f64 v[35:36], v[35:36], -v[50:51]
	buffer_store_dword v8, off, s[0:3], 0 offset:4
	buffer_store_dword v7, off, s[0:3], 0
	buffer_store_dword v38, off, s[0:3], 0 offset:12
	buffer_store_dword v37, off, s[0:3], 0 offset:8
	;; [unrolled: 1-line block ×30, first 2 shown]
	s_branch .LBB1_2
.LBB1_1:                                ;   in Loop: Header=BB1_2 Depth=1
	s_or_b32 exec_lo, exec_lo, s4
	v_mul_f64 v[13:14], v[21:22], v[21:22]
	v_mul_f64 v[15:16], v[9:10], v[9:10]
	v_mul_f64 v[50:51], v[23:24], 0.5
	v_mul_f64 v[58:59], v[11:12], 0.5
	v_cmp_class_f64_e64 vcc_lo, v[5:6], 0x1f8
	v_lshlrev_b32_e32 v5, 30, v26
	s_add_i32 s33, s33, 16
	s_add_u32 s6, s6, 4
	s_addc_u32 s7, s7, 0
	s_cmpk_eq_i32 s33, 0x80
	v_fma_f64 v[17:18], v[13:14], s[38:39], s[36:37]
	v_fma_f64 v[19:20], v[15:16], s[38:39], s[36:37]
	;; [unrolled: 1-line block ×3, first 2 shown]
	v_mul_f64 v[35:36], v[13:14], 0.5
	v_fma_f64 v[37:38], v[15:16], s[24:25], s[22:23]
	v_mul_f64 v[46:47], v[15:16], 0.5
	v_mul_f64 v[52:53], v[21:22], -v[13:14]
	v_mul_f64 v[60:61], v[9:10], -v[15:16]
	v_fma_f64 v[17:18], v[13:14], v[17:18], s[40:41]
	v_fma_f64 v[19:20], v[15:16], v[19:20], s[40:41]
	;; [unrolled: 1-line block ×3, first 2 shown]
	v_add_f64 v[48:49], -v[35:36], 1.0
	v_fma_f64 v[37:38], v[15:16], v[37:38], s[26:27]
	v_add_f64 v[54:55], -v[46:47], 1.0
	v_fma_f64 v[17:18], v[13:14], v[17:18], s[42:43]
	v_fma_f64 v[19:20], v[15:16], v[19:20], s[42:43]
	;; [unrolled: 1-line block ×3, first 2 shown]
	v_add_f64 v[56:57], -v[48:49], 1.0
	v_fma_f64 v[37:38], v[15:16], v[37:38], s[28:29]
	v_add_f64 v[62:63], -v[54:55], 1.0
	v_fma_f64 v[17:18], v[13:14], v[17:18], s[44:45]
	v_fma_f64 v[19:20], v[15:16], v[19:20], s[44:45]
	;; [unrolled: 1-line block ×3, first 2 shown]
	v_add_f64 v[35:36], v[56:57], -v[35:36]
	v_fma_f64 v[37:38], v[15:16], v[37:38], s[30:31]
	v_add_f64 v[46:47], v[62:63], -v[46:47]
	v_fma_f64 v[17:18], v[52:53], v[17:18], v[50:51]
	v_fma_f64 v[19:20], v[60:61], v[19:20], v[58:59]
	v_mul_f64 v[50:51], v[13:14], v[13:14]
	v_fma_f64 v[27:28], v[13:14], v[27:28], s[34:35]
	v_fma_f64 v[35:36], v[21:22], -v[23:24], v[35:36]
	v_fma_f64 v[13:14], v[13:14], v[17:18], -v[23:24]
	v_fma_f64 v[17:18], v[15:16], v[19:20], -v[11:12]
	v_mul_f64 v[19:20], v[15:16], v[15:16]
	v_fma_f64 v[15:16], v[15:16], v[37:38], s[34:35]
	v_fma_f64 v[11:12], v[9:10], -v[11:12], v[46:47]
	v_fma_f64 v[23:24], v[50:51], v[27:28], v[35:36]
	v_fma_f64 v[13:14], v[52:53], s[46:47], v[13:14]
	;; [unrolled: 1-line block ×4, first 2 shown]
	v_add_f64 v[15:16], v[48:49], v[23:24]
	v_and_b32_e32 v19, 1, v26
	v_xor_b32_e32 v20, v5, v6
	v_cmp_eq_u32_e64 s4, 0, v19
	v_add_f64 v[13:14], v[21:22], -v[13:14]
	v_add_f64 v[5:6], v[9:10], -v[17:18]
	v_and_b32_e32 v17, 0x80000000, v20
	v_add_f64 v[9:10], v[54:55], v[11:12]
	v_cndmask_b32_e64 v11, v16, v14, s4
	v_cndmask_b32_e64 v12, v15, v13, s4
	v_and_b32_e32 v14, 1, v25
	v_lshlrev_b32_e32 v15, 30, v25
	v_xor_b32_e32 v6, 0x80000000, v6
	v_xor_b32_e32 v13, v11, v17
	v_cndmask_b32_e32 v11, 0, v12, vcc_lo
	v_cmp_eq_u32_e64 s4, 0, v14
	v_and_b32_e32 v15, 0x80000000, v15
	v_cndmask_b32_e32 v12, 0x7ff80000, v13, vcc_lo
	v_cndmask_b32_e64 v6, v6, v10, s4
	v_cndmask_b32_e64 v5, v5, v9, s4
	s_waitcnt vmcnt(0)
	v_mul_f64 v[13:14], v[3:4], v[11:12]
	v_mul_f64 v[11:12], v[1:2], v[11:12]
	v_xor_b32_e32 v6, v6, v15
	v_cndmask_b32_e32 v5, 0, v5, vcc_lo
	v_cndmask_b32_e32 v6, 0x7ff80000, v6, vcc_lo
	v_fma_f64 v[1:2], v[1:2], v[5:6], -v[13:14]
	v_fma_f64 v[3:4], v[3:4], v[5:6], v[11:12]
	v_mov_b32_e32 v5, s48
	buffer_store_dword v2, v5, s[0:3], 0 offen offset:4
	buffer_store_dword v1, v5, s[0:3], 0 offen
	buffer_store_dword v4, v5, s[0:3], 0 offen offset:12
	buffer_store_dword v3, v5, s[0:3], 0 offen offset:8
	s_cbranch_scc1 .LBB1_10
.LBB1_2:                                ; =>This Inner Loop Header: Depth=1
	v_mov_b32_e32 v4, s33
	s_mov_b32 s48, s33
                                        ; implicit-def: $vgpr25
                                        ; implicit-def: $vgpr9_vgpr10
                                        ; implicit-def: $vgpr11_vgpr12
	s_clause 0x3
	buffer_load_dword v1, v4, s[0:3], 0 offen
	buffer_load_dword v2, v4, s[0:3], 0 offen offset:4
	buffer_load_dword v3, v4, s[0:3], 0 offen offset:8
	;; [unrolled: 1-line block ×3, first 2 shown]
	s_load_dword s4, s[6:7], 0x0
	s_waitcnt lgkmcnt(0)
	v_cvt_f64_i32_e32 v[5:6], s4
	v_mul_f64 v[5:6], v[5:6], s[8:9]
	v_ldexp_f64 v[5:6], v[5:6], -9
	v_mul_f64 v[5:6], v[5:6], v[33:34]
	v_cmp_ngt_f64_e64 s49, 0x41d00000, |v[5:6]|
	v_trig_preop_f64 v[17:18], |v[5:6]|, 0
	v_trig_preop_f64 v[15:16], |v[5:6]|, 1
	v_ldexp_f64 v[19:20], |v[5:6]|, 0xffffff80
	v_trig_preop_f64 v[13:14], |v[5:6]|, 2
	v_and_b32_e32 v27, 0x7fffffff, v6
	s_and_saveexec_b32 s4, s49
	s_xor_b32 s12, exec_lo, s4
	s_cbranch_execz .LBB1_4
; %bb.3:                                ;   in Loop: Header=BB1_2 Depth=1
	v_cmp_le_f64_e64 vcc_lo, 0x7b000000, |v[5:6]|
	s_mov_b32 s4, s10
	s_mov_b32 s15, s13
	v_cndmask_b32_e32 v10, v27, v20, vcc_lo
	v_cndmask_b32_e32 v9, v5, v19, vcc_lo
	v_mul_f64 v[11:12], v[17:18], v[9:10]
	v_mul_f64 v[21:22], v[15:16], v[9:10]
	;; [unrolled: 1-line block ×3, first 2 shown]
	v_fma_f64 v[23:24], v[17:18], v[9:10], -v[11:12]
	v_fma_f64 v[50:51], v[15:16], v[9:10], -v[21:22]
	;; [unrolled: 1-line block ×3, first 2 shown]
	v_add_f64 v[25:26], v[21:22], v[23:24]
	v_add_f64 v[35:36], v[25:26], -v[21:22]
	v_add_f64 v[46:47], v[11:12], v[25:26]
	v_add_f64 v[37:38], v[25:26], -v[35:36]
	v_add_f64 v[23:24], v[23:24], -v[35:36]
	v_ldexp_f64 v[35:36], v[46:47], -2
	v_add_f64 v[11:12], v[46:47], -v[11:12]
	v_add_f64 v[21:22], v[21:22], -v[37:38]
	v_add_f64 v[37:38], v[48:49], v[50:51]
	v_cmp_neq_f64_e64 vcc_lo, 0x7ff00000, |v[35:36]|
	v_add_f64 v[11:12], v[25:26], -v[11:12]
	v_add_f64 v[21:22], v[23:24], v[21:22]
	v_fract_f64_e32 v[23:24], v[35:36]
	v_add_f64 v[25:26], v[37:38], v[21:22]
	v_ldexp_f64 v[23:24], v[23:24], 2
	v_add_f64 v[35:36], v[11:12], v[25:26]
	v_cndmask_b32_e32 v24, 0, v24, vcc_lo
	v_cndmask_b32_e32 v23, 0, v23, vcc_lo
	v_add_f64 v[52:53], v[25:26], -v[37:38]
	v_add_f64 v[46:47], v[35:36], v[23:24]
	v_add_f64 v[11:12], v[35:36], -v[11:12]
	v_add_f64 v[58:59], v[25:26], -v[52:53]
	;; [unrolled: 1-line block ×3, first 2 shown]
	v_cmp_gt_f64_e32 vcc_lo, 0, v[46:47]
	v_add_f64 v[46:47], v[37:38], -v[48:49]
	v_add_f64 v[11:12], v[25:26], -v[11:12]
	v_cndmask_b32_e64 v32, 0, 0x40100000, vcc_lo
	v_add_f64 v[56:57], v[37:38], -v[46:47]
	v_add_f64 v[46:47], v[50:51], -v[46:47]
	v_add_f64 v[37:38], v[37:38], -v[58:59]
	v_add_f64 v[23:24], v[23:24], v[31:32]
	v_add_f64 v[50:51], v[48:49], -v[56:57]
	v_add_f64 v[21:22], v[21:22], v[37:38]
	v_add_f64 v[54:55], v[35:36], v[23:24]
	;; [unrolled: 1-line block ×3, first 2 shown]
	v_cvt_i32_f64_e32 v28, v[54:55]
	v_add_f64 v[21:22], v[46:47], v[21:22]
	v_cvt_f64_i32_e32 v[52:53], v28
	v_add_f64 v[9:10], v[9:10], v[21:22]
	v_add_f64 v[23:24], v[23:24], -v[52:53]
	v_add_f64 v[9:10], v[11:12], v[9:10]
	v_add_f64 v[37:38], v[35:36], v[23:24]
	v_add_f64 v[21:22], v[37:38], -v[23:24]
	v_cmp_le_f64_e32 vcc_lo, 0.5, v[37:38]
	v_add_f64 v[11:12], v[35:36], -v[21:22]
	v_cndmask_b32_e64 v32, 0, 0x3ff00000, vcc_lo
	v_add_co_ci_u32_e64 v25, null, 0, v28, vcc_lo
	v_add_f64 v[9:10], v[9:10], v[11:12]
	v_add_f64 v[11:12], v[37:38], -v[31:32]
	v_add_f64 v[21:22], v[11:12], v[9:10]
	v_mul_f64 v[23:24], v[21:22], s[4:5]
	v_add_f64 v[11:12], v[21:22], -v[11:12]
	v_fma_f64 v[35:36], v[21:22], s[4:5], -v[23:24]
	v_add_f64 v[9:10], v[9:10], -v[11:12]
	v_fma_f64 v[11:12], v[21:22], s[14:15], v[35:36]
	v_fma_f64 v[11:12], v[9:10], s[4:5], v[11:12]
	v_add_f64 v[9:10], v[23:24], v[11:12]
	v_add_f64 v[21:22], v[9:10], -v[23:24]
	v_add_f64 v[11:12], v[11:12], -v[21:22]
	s_andn2_saveexec_b32 s4, s12
	s_cbranch_execz .LBB1_6
	s_branch .LBB1_5
.LBB1_4:                                ;   in Loop: Header=BB1_2 Depth=1
	s_andn2_saveexec_b32 s4, s12
	s_cbranch_execz .LBB1_6
.LBB1_5:                                ;   in Loop: Header=BB1_2 Depth=1
	v_mul_f64 v[9:10], |v[5:6]|, s[16:17]
	s_mov_b32 s12, s18
	v_rndne_f64_e32 v[21:22], v[9:10]
	v_fma_f64 v[9:10], v[21:22], s[10:11], |v[5:6]|
	v_mul_f64 v[11:12], v[21:22], s[18:19]
	v_fma_f64 v[25:26], v[21:22], s[18:19], v[9:10]
	v_add_f64 v[23:24], v[9:10], v[11:12]
	v_add_f64 v[9:10], v[9:10], -v[23:24]
	v_add_f64 v[23:24], v[23:24], -v[25:26]
	v_add_f64 v[9:10], v[9:10], v[11:12]
	v_fma_f64 v[11:12], v[21:22], s[12:13], v[11:12]
	v_add_f64 v[9:10], v[23:24], v[9:10]
	v_add_f64 v[9:10], v[9:10], -v[11:12]
	v_fma_f64 v[11:12], v[21:22], s[20:21], v[9:10]
	v_add_f64 v[9:10], v[25:26], v[11:12]
	v_add_f64 v[23:24], v[9:10], -v[25:26]
	v_cvt_i32_f64_e32 v25, v[21:22]
	v_add_f64 v[11:12], v[11:12], -v[23:24]
.LBB1_6:                                ;   in Loop: Header=BB1_2 Depth=1
	s_or_b32 exec_lo, exec_lo, s4
                                        ; implicit-def: $vgpr26
                                        ; implicit-def: $vgpr21_vgpr22
                                        ; implicit-def: $vgpr23_vgpr24
	s_and_saveexec_b32 s4, s49
	s_xor_b32 s12, exec_lo, s4
	s_cbranch_execz .LBB1_8
; %bb.7:                                ;   in Loop: Header=BB1_2 Depth=1
	v_cmp_le_f64_e64 vcc_lo, 0x7b000000, |v[5:6]|
	s_mov_b32 s4, s10
	s_mov_b32 s15, s13
	v_cndmask_b32_e32 v20, v27, v20, vcc_lo
	v_cndmask_b32_e32 v19, v5, v19, vcc_lo
	v_mul_f64 v[21:22], v[17:18], v[19:20]
	v_mul_f64 v[23:24], v[15:16], v[19:20]
	;; [unrolled: 1-line block ×3, first 2 shown]
	v_fma_f64 v[17:18], v[17:18], v[19:20], -v[21:22]
	v_fma_f64 v[15:16], v[15:16], v[19:20], -v[23:24]
	;; [unrolled: 1-line block ×3, first 2 shown]
	v_add_f64 v[26:27], v[23:24], v[17:18]
	v_add_f64 v[35:36], v[26:27], -v[23:24]
	v_add_f64 v[46:47], v[21:22], v[26:27]
	v_add_f64 v[37:38], v[26:27], -v[35:36]
	v_add_f64 v[17:18], v[17:18], -v[35:36]
	v_ldexp_f64 v[35:36], v[46:47], -2
	v_add_f64 v[21:22], v[46:47], -v[21:22]
	v_add_f64 v[23:24], v[23:24], -v[37:38]
	v_add_f64 v[37:38], v[48:49], v[15:16]
	v_cmp_neq_f64_e64 vcc_lo, 0x7ff00000, |v[35:36]|
	v_add_f64 v[21:22], v[26:27], -v[21:22]
	v_add_f64 v[17:18], v[17:18], v[23:24]
	v_fract_f64_e32 v[23:24], v[35:36]
	v_add_f64 v[26:27], v[37:38], v[17:18]
	v_ldexp_f64 v[23:24], v[23:24], 2
	v_add_f64 v[35:36], v[21:22], v[26:27]
	v_cndmask_b32_e32 v24, 0, v24, vcc_lo
	v_cndmask_b32_e32 v23, 0, v23, vcc_lo
	v_add_f64 v[50:51], v[26:27], -v[37:38]
	v_add_f64 v[46:47], v[35:36], v[23:24]
	v_add_f64 v[19:20], v[35:36], -v[21:22]
	v_add_f64 v[56:57], v[26:27], -v[50:51]
	;; [unrolled: 1-line block ×3, first 2 shown]
	v_cmp_gt_f64_e32 vcc_lo, 0, v[46:47]
	v_add_f64 v[46:47], v[37:38], -v[48:49]
	v_add_f64 v[19:20], v[26:27], -v[19:20]
	v_cndmask_b32_e64 v32, 0, 0x40100000, vcc_lo
	v_add_f64 v[54:55], v[37:38], -v[46:47]
	v_add_f64 v[15:16], v[15:16], -v[46:47]
	;; [unrolled: 1-line block ×3, first 2 shown]
	v_add_f64 v[23:24], v[23:24], v[31:32]
	v_add_f64 v[46:47], v[48:49], -v[54:55]
	v_add_f64 v[17:18], v[17:18], v[37:38]
	v_add_f64 v[52:53], v[35:36], v[23:24]
	;; [unrolled: 1-line block ×3, first 2 shown]
	v_cvt_i32_f64_e32 v28, v[52:53]
	v_add_f64 v[15:16], v[15:16], v[17:18]
	v_cvt_f64_i32_e32 v[50:51], v28
	v_add_f64 v[13:14], v[13:14], v[15:16]
	v_add_f64 v[23:24], v[23:24], -v[50:51]
	v_add_f64 v[13:14], v[19:20], v[13:14]
	v_add_f64 v[17:18], v[35:36], v[23:24]
	v_add_f64 v[15:16], v[17:18], -v[23:24]
	v_cmp_le_f64_e32 vcc_lo, 0.5, v[17:18]
	v_add_f64 v[15:16], v[35:36], -v[15:16]
	v_cndmask_b32_e64 v32, 0, 0x3ff00000, vcc_lo
	v_add_co_ci_u32_e64 v26, null, 0, v28, vcc_lo
	v_add_f64 v[13:14], v[13:14], v[15:16]
	v_add_f64 v[15:16], v[17:18], -v[31:32]
	v_add_f64 v[17:18], v[15:16], v[13:14]
	v_mul_f64 v[19:20], v[17:18], s[4:5]
	v_add_f64 v[15:16], v[17:18], -v[15:16]
	v_fma_f64 v[21:22], v[17:18], s[4:5], -v[19:20]
	v_add_f64 v[13:14], v[13:14], -v[15:16]
	v_fma_f64 v[15:16], v[17:18], s[14:15], v[21:22]
	v_fma_f64 v[13:14], v[13:14], s[4:5], v[15:16]
	v_add_f64 v[21:22], v[19:20], v[13:14]
	v_add_f64 v[15:16], v[21:22], -v[19:20]
	v_add_f64 v[23:24], v[13:14], -v[15:16]
	s_andn2_saveexec_b32 s4, s12
	s_cbranch_execz .LBB1_1
	s_branch .LBB1_9
.LBB1_8:                                ;   in Loop: Header=BB1_2 Depth=1
	s_andn2_saveexec_b32 s4, s12
	s_cbranch_execz .LBB1_1
.LBB1_9:                                ;   in Loop: Header=BB1_2 Depth=1
	v_mul_f64 v[13:14], |v[5:6]|, s[16:17]
	s_mov_b32 s12, s18
	v_rndne_f64_e32 v[13:14], v[13:14]
	v_fma_f64 v[15:16], v[13:14], s[10:11], |v[5:6]|
	v_mul_f64 v[17:18], v[13:14], s[18:19]
	v_cvt_i32_f64_e32 v26, v[13:14]
	v_fma_f64 v[23:24], v[13:14], s[18:19], v[15:16]
	v_add_f64 v[19:20], v[15:16], v[17:18]
	v_add_f64 v[15:16], v[15:16], -v[19:20]
	v_add_f64 v[19:20], v[19:20], -v[23:24]
	v_add_f64 v[15:16], v[15:16], v[17:18]
	v_fma_f64 v[17:18], v[13:14], s[12:13], v[17:18]
	v_add_f64 v[15:16], v[19:20], v[15:16]
	v_add_f64 v[15:16], v[15:16], -v[17:18]
	v_fma_f64 v[15:16], v[13:14], s[20:21], v[15:16]
	v_add_f64 v[21:22], v[23:24], v[15:16]
	v_add_f64 v[17:18], v[21:22], -v[23:24]
	v_add_f64 v[23:24], v[15:16], -v[17:18]
	s_branch .LBB1_1
.LBB1_10:
	s_clause 0xd
	buffer_load_dword v1, off, s[0:3], 0 offset:16
	buffer_load_dword v2, off, s[0:3], 0 offset:20
	buffer_load_dword v3, off, s[0:3], 0 offset:32
	buffer_load_dword v4, off, s[0:3], 0 offset:36
	buffer_load_dword v5, off, s[0:3], 0 offset:48
	buffer_load_dword v6, off, s[0:3], 0 offset:52
	buffer_load_dword v9, off, s[0:3], 0 offset:64
	buffer_load_dword v10, off, s[0:3], 0 offset:68
	buffer_load_dword v12, off, s[0:3], 0 offset:100
	buffer_load_dword v13, off, s[0:3], 0 offset:112
	buffer_load_dword v11, off, s[0:3], 0 offset:96
	buffer_load_dword v16, off, s[0:3], 0 offset:84
	buffer_load_dword v15, off, s[0:3], 0 offset:80
	buffer_load_dword v14, off, s[0:3], 0 offset:116
	v_and_b32_e32 v31, 7, v0
	v_and_b32_e32 v17, 0x3f8, v0
	v_lshlrev_b32_e32 v28, 3, v0
	s_mov_b32 s4, 0x667f3bcd
	s_mov_b32 s5, 0x3fe6a09e
	v_lshrrev_b32_e32 v32, 3, v0
	v_mad_u32_u24 v17, 0x210, v31, v17
	v_add_nc_u32_e32 v18, 0x800, v28
	v_mov_b32_e32 v0, 0
	s_mov_b32 s8, 0x54442d18
	s_mov_b32 s10, 0x54442d18
	;; [unrolled: 1-line block ×38, first 2 shown]
	s_getpc_b64 s[6:7]
	s_add_u32 s6, s6, __const._Z10ifft1D_512P15HIP_vector_typeIdLj2EE.reversed@rel32@lo+8
	s_addc_u32 s7, s7, __const._Z10ifft1D_512P15HIP_vector_typeIdLj2EE.reversed@rel32@hi+16
	s_waitcnt vmcnt(6)
	ds_write2_b64 v28, v[7:8], v[9:10] offset1:66
	s_waitcnt vmcnt(3)
	ds_write2_b64 v28, v[3:4], v[11:12] offset0:132 offset1:198
	s_waitcnt vmcnt(1)
	ds_write2_b64 v18, v[1:2], v[15:16] offset0:8 offset1:74
	;; [unrolled: 2-line block ×3, first 2 shown]
	s_waitcnt lgkmcnt(0)
	s_waitcnt_vscnt null, 0x0
	s_barrier
	buffer_gl0_inv
	ds_read2_b64 v[1:4], v17 offset1:8
	ds_read2_b64 v[5:8], v17 offset0:16 offset1:24
	ds_read2_b64 v[9:12], v17 offset0:32 offset1:40
	;; [unrolled: 1-line block ×3, first 2 shown]
	s_waitcnt lgkmcnt(3)
	buffer_store_dword v2, off, s[0:3], 0 offset:4
	buffer_store_dword v1, off, s[0:3], 0
	buffer_store_dword v4, off, s[0:3], 0 offset:20
	buffer_store_dword v3, off, s[0:3], 0 offset:16
	s_waitcnt lgkmcnt(2)
	buffer_store_dword v6, off, s[0:3], 0 offset:36
	buffer_store_dword v5, off, s[0:3], 0 offset:32
	buffer_store_dword v8, off, s[0:3], 0 offset:52
	buffer_store_dword v7, off, s[0:3], 0 offset:48
	s_waitcnt lgkmcnt(1)
	buffer_store_dword v10, off, s[0:3], 0 offset:68
	buffer_store_dword v9, off, s[0:3], 0 offset:64
	buffer_store_dword v12, off, s[0:3], 0 offset:84
	buffer_store_dword v11, off, s[0:3], 0 offset:80
	s_waitcnt lgkmcnt(0)
	buffer_store_dword v14, off, s[0:3], 0 offset:100
	buffer_store_dword v13, off, s[0:3], 0 offset:96
	buffer_store_dword v16, off, s[0:3], 0 offset:116
	buffer_store_dword v15, off, s[0:3], 0 offset:112
	s_waitcnt_vscnt null, 0x0
	s_barrier
	buffer_gl0_inv
	s_clause 0xf
	buffer_load_dword v2, off, s[0:3], 0 offset:76
	buffer_load_dword v4, off, s[0:3], 0 offset:108
	;; [unrolled: 1-line block ×16, first 2 shown]
	s_waitcnt vmcnt(6)
	ds_write2_b64 v28, v[9:10], v[1:2] offset1:66
	s_waitcnt vmcnt(2)
	ds_write2_b64 v28, v[13:14], v[3:4] offset0:132 offset1:198
	ds_write2_b64 v18, v[11:12], v[7:8] offset0:8 offset1:74
	s_waitcnt vmcnt(0)
	ds_write2_b64 v18, v[15:16], v[5:6] offset0:140 offset1:206
	s_waitcnt lgkmcnt(0)
	s_barrier
	buffer_gl0_inv
	ds_read2_b64 v[1:4], v17 offset1:8
	ds_read2_b64 v[5:8], v17 offset0:16 offset1:24
	ds_read2_b64 v[9:12], v17 offset0:32 offset1:40
	;; [unrolled: 1-line block ×3, first 2 shown]
	s_waitcnt lgkmcnt(3)
	buffer_store_dword v2, off, s[0:3], 0 offset:12
	buffer_store_dword v1, off, s[0:3], 0 offset:8
	buffer_store_dword v4, off, s[0:3], 0 offset:28
	buffer_store_dword v3, off, s[0:3], 0 offset:24
	s_waitcnt lgkmcnt(2)
	buffer_store_dword v6, off, s[0:3], 0 offset:44
	buffer_store_dword v5, off, s[0:3], 0 offset:40
	buffer_store_dword v8, off, s[0:3], 0 offset:60
	buffer_store_dword v7, off, s[0:3], 0 offset:56
	;; [unrolled: 5-line block ×4, first 2 shown]
	s_waitcnt_vscnt null, 0x0
	s_barrier
	buffer_gl0_inv
	s_clause 0x1f
	buffer_load_dword v2, off, s[0:3], 0 offset:116
	buffer_load_dword v4, off, s[0:3], 0 offset:124
	;; [unrolled: 1-line block ×12, first 2 shown]
	buffer_load_dword v13, off, s[0:3], 0
	buffer_load_dword v14, off, s[0:3], 0 offset:4
	buffer_load_dword v15, off, s[0:3], 0 offset:8
	;; [unrolled: 1-line block ×19, first 2 shown]
	s_waitcnt vmcnt(26)
	v_add_f64 v[46:47], v[5:6], -v[1:2]
	v_add_f64 v[1:2], v[5:6], v[1:2]
	s_waitcnt vmcnt(24)
	v_add_f64 v[48:49], v[7:8], -v[3:4]
	v_add_f64 v[3:4], v[7:8], v[3:4]
	;; [unrolled: 3-line block ×4, first 2 shown]
	s_waitcnt vmcnt(9)
	v_add_f64 v[7:8], v[15:16], v[21:22]
	s_waitcnt vmcnt(8)
	v_add_f64 v[5:6], v[13:14], v[23:24]
	v_add_f64 v[13:14], v[13:14], -v[23:24]
	v_add_f64 v[15:16], v[15:16], -v[21:22]
	v_add_f64 v[54:55], -v[46:47], -v[48:49]
	v_add_f64 v[46:47], v[46:47], -v[48:49]
	s_waitcnt vmcnt(2)
	v_add_f64 v[17:18], v[35:36], v[33:34]
	s_waitcnt vmcnt(0)
	v_add_f64 v[19:20], v[37:38], v[25:26]
	v_add_f64 v[33:34], v[35:36], -v[33:34]
	v_add_f64 v[25:26], v[37:38], -v[25:26]
	;; [unrolled: 1-line block ×3, first 2 shown]
	v_add_f64 v[37:38], v[50:51], v[52:53]
	v_add_f64 v[50:51], v[9:10], -v[1:2]
	v_add_f64 v[52:53], v[11:12], -v[3:4]
	v_add_f64 v[9:10], v[9:10], v[1:2]
	v_add_f64 v[11:12], v[11:12], v[3:4]
	v_mul_f64 v[48:49], v[54:55], s[4:5]
	v_mul_f64 v[46:47], v[46:47], s[4:5]
	v_add_f64 v[23:24], v[5:6], v[17:18]
	v_add_f64 v[54:55], v[7:8], v[19:20]
	v_add_f64 v[17:18], v[5:6], -v[17:18]
	v_fma_f64 v[56:57], v[33:34], 0, -v[25:26]
	v_fma_f64 v[21:22], v[25:26], 0, v[33:34]
	v_add_f64 v[6:7], v[7:8], -v[19:20]
	v_cvt_f64_u32_e32 v[4:5], v32
	v_fma_f64 v[58:59], v[50:51], 0, -v[52:53]
	v_fma_f64 v[19:20], v[52:53], 0, v[50:51]
	v_fma_f64 v[25:26], v[35:36], s[4:5], -v[48:49]
	v_fma_f64 v[33:34], v[37:38], s[4:5], -v[46:47]
	v_fma_f64 v[35:36], v[35:36], s[4:5], v[48:49]
	v_fma_f64 v[37:38], v[37:38], s[4:5], v[46:47]
	v_add_f64 v[2:3], v[23:24], v[9:10]
	v_add_f64 v[52:53], v[13:14], v[56:57]
	;; [unrolled: 1-line block ×4, first 2 shown]
	v_add_f64 v[8:9], v[23:24], -v[9:10]
	v_add_f64 v[10:11], v[54:55], -v[11:12]
	;; [unrolled: 1-line block ×4, first 2 shown]
	v_fma_f64 v[23:24], v[25:26], 0, -v[33:34]
	v_fma_f64 v[21:22], v[33:34], 0, v[25:26]
	v_add_f64 v[25:26], v[17:18], v[58:59]
	v_add_f64 v[33:34], v[6:7], v[19:20]
	v_add_f64 v[16:17], v[17:18], -v[58:59]
	v_add_f64 v[6:7], v[6:7], -v[19:20]
	v_add_f64 v[18:19], v[52:53], v[35:36]
	v_add_f64 v[46:47], v[48:49], v[37:38]
	v_add_f64 v[35:36], v[52:53], -v[35:36]
	v_add_f64 v[37:38], v[48:49], -v[37:38]
	buffer_store_dword v8, off, s[0:3], 0 offset:16
	buffer_store_dword v9, off, s[0:3], 0 offset:20
	;; [unrolled: 1-line block ×4, first 2 shown]
	buffer_store_dword v2, off, s[0:3], 0
	buffer_store_dword v3, off, s[0:3], 0 offset:4
	buffer_store_dword v50, off, s[0:3], 0 offset:8
	;; [unrolled: 1-line block ×3, first 2 shown]
	v_add_f64 v[8:9], v[12:13], v[23:24]
	v_add_f64 v[48:49], v[14:15], v[21:22]
	v_add_f64 v[10:11], v[12:13], -v[23:24]
	v_add_f64 v[12:13], v[14:15], -v[21:22]
	buffer_store_dword v25, off, s[0:3], 0 offset:32
	buffer_store_dword v26, off, s[0:3], 0 offset:36
	;; [unrolled: 1-line block ×24, first 2 shown]
	s_branch .LBB1_12
.LBB1_11:                               ;   in Loop: Header=BB1_12 Depth=1
	s_or_b32 exec_lo, exec_lo, s4
	v_mul_f64 v[16:17], v[12:13], v[12:13]
	v_mul_f64 v[18:19], v[24:25], v[24:25]
	v_mul_f64 v[56:57], v[14:15], 0.5
	v_mul_f64 v[62:63], v[26:27], 0.5
	v_and_b32_e32 v1, 1, v33
	v_cmp_class_f64_e64 s4, v[10:11], 0x1f8
	v_lshlrev_b32_e32 v10, 30, v35
	s_add_i32 s33, s33, 16
	s_add_u32 s6, s6, 4
	v_cmp_eq_u32_e32 vcc_lo, 0, v1
	s_addc_u32 s7, s7, 0
	v_xor_b32_e32 v10, v10, v11
	s_cmpk_eq_i32 s33, 0x80
	v_and_b32_e32 v10, 0x80000000, v10
	v_fma_f64 v[20:21], v[16:17], s[42:43], s[40:41]
	v_fma_f64 v[22:23], v[18:19], s[42:43], s[40:41]
	;; [unrolled: 1-line block ×3, first 2 shown]
	v_mul_f64 v[46:47], v[16:17], 0.5
	v_fma_f64 v[48:49], v[18:19], s[26:27], s[24:25]
	v_mul_f64 v[50:51], v[18:19], 0.5
	v_mul_f64 v[58:59], v[12:13], -v[16:17]
	v_mul_f64 v[64:65], v[24:25], -v[18:19]
	v_fma_f64 v[20:21], v[16:17], v[20:21], s[44:45]
	v_fma_f64 v[22:23], v[18:19], v[22:23], s[44:45]
	;; [unrolled: 1-line block ×3, first 2 shown]
	v_add_f64 v[52:53], -v[46:47], 1.0
	v_fma_f64 v[48:49], v[18:19], v[48:49], s[28:29]
	v_add_f64 v[54:55], -v[50:51], 1.0
	v_fma_f64 v[20:21], v[16:17], v[20:21], s[46:47]
	v_fma_f64 v[22:23], v[18:19], v[22:23], s[46:47]
	;; [unrolled: 1-line block ×3, first 2 shown]
	v_add_f64 v[60:61], -v[52:53], 1.0
	v_fma_f64 v[48:49], v[18:19], v[48:49], s[30:31]
	v_add_f64 v[66:67], -v[54:55], 1.0
	v_fma_f64 v[20:21], v[16:17], v[20:21], s[48:49]
	v_fma_f64 v[22:23], v[18:19], v[22:23], s[48:49]
	;; [unrolled: 1-line block ×3, first 2 shown]
	v_add_f64 v[46:47], v[60:61], -v[46:47]
	v_fma_f64 v[48:49], v[18:19], v[48:49], s[34:35]
	v_add_f64 v[50:51], v[66:67], -v[50:51]
	v_fma_f64 v[20:21], v[58:59], v[20:21], v[56:57]
	v_fma_f64 v[22:23], v[64:65], v[22:23], v[62:63]
	v_mul_f64 v[56:57], v[16:17], v[16:17]
	v_fma_f64 v[36:37], v[16:17], v[36:37], s[36:37]
	v_fma_f64 v[46:47], v[12:13], -v[14:15], v[46:47]
	v_fma_f64 v[14:15], v[16:17], v[20:21], -v[14:15]
	v_mul_f64 v[16:17], v[18:19], v[18:19]
	v_fma_f64 v[20:21], v[18:19], v[48:49], s[36:37]
	v_fma_f64 v[48:49], v[24:25], -v[26:27], v[50:51]
	v_fma_f64 v[18:19], v[18:19], v[22:23], -v[26:27]
	v_fma_f64 v[22:23], v[56:57], v[36:37], v[46:47]
	v_fma_f64 v[14:15], v[58:59], s[38:39], v[14:15]
	;; [unrolled: 1-line block ×4, first 2 shown]
	v_add_f64 v[20:21], v[52:53], v[22:23]
	v_add_f64 v[12:13], v[12:13], -v[14:15]
	v_add_f64 v[14:15], v[54:55], v[16:17]
	v_add_f64 v[16:17], v[24:25], -v[18:19]
	v_cndmask_b32_e32 v1, v12, v20, vcc_lo
	v_and_b32_e32 v12, 1, v35
	v_cmp_eq_u32_e64 s5, 0, v12
	v_cndmask_b32_e64 v12, v15, v17, s5
	v_cndmask_b32_e64 v11, v14, v16, s5
	v_xor_b32_e32 v12, v12, v10
	v_cndmask_b32_e64 v11, 0, v11, s4
	v_cndmask_b32_e64 v10, 0, v1, s4
	v_lshlrev_b32_e32 v1, 30, v33
	v_cndmask_b32_e64 v12, 0x7ff80000, v12, s4
	v_and_b32_e32 v1, 0x80000000, v1
	s_waitcnt vmcnt(0)
	v_mul_f64 v[14:15], v[8:9], v[11:12]
	v_mul_f64 v[16:17], v[6:7], v[11:12]
	v_xor_b32_e32 v11, 0x80000000, v13
	v_cndmask_b32_e32 v11, v11, v21, vcc_lo
	v_xor_b32_e32 v1, v11, v1
	v_cndmask_b32_e64 v11, 0x7ff80000, v1, s4
	v_mov_b32_e32 v1, s50
	v_fma_f64 v[6:7], v[6:7], v[10:11], -v[14:15]
	v_fma_f64 v[8:9], v[8:9], v[10:11], v[16:17]
	buffer_store_dword v7, v1, s[0:3], 0 offen offset:4
	buffer_store_dword v6, v1, s[0:3], 0 offen
	buffer_store_dword v9, v1, s[0:3], 0 offen offset:12
	buffer_store_dword v8, v1, s[0:3], 0 offen offset:8
	s_cbranch_scc1 .LBB1_20
.LBB1_12:                               ; =>This Inner Loop Header: Depth=1
	v_mov_b32_e32 v1, s33
	s_mov_b32 s50, s33
                                        ; implicit-def: $vgpr33
                                        ; implicit-def: $vgpr12_vgpr13
                                        ; implicit-def: $vgpr14_vgpr15
	s_clause 0x3
	buffer_load_dword v6, v1, s[0:3], 0 offen
	buffer_load_dword v7, v1, s[0:3], 0 offen offset:4
	buffer_load_dword v8, v1, s[0:3], 0 offen offset:8
	;; [unrolled: 1-line block ×3, first 2 shown]
	s_load_dword s4, s[6:7], 0x0
	s_waitcnt lgkmcnt(0)
	v_cvt_f64_i32_e32 v[10:11], s4
	v_mul_f64 v[10:11], v[10:11], s[8:9]
	v_ldexp_f64 v[10:11], v[10:11], -6
	v_mul_f64 v[10:11], v[10:11], v[4:5]
	v_cmp_ngt_f64_e64 s4, 0x41d00000, |v[10:11]|
	v_trig_preop_f64 v[20:21], |v[10:11]|, 0
	v_trig_preop_f64 v[18:19], |v[10:11]|, 1
	v_ldexp_f64 v[22:23], |v[10:11]|, 0xffffff80
	v_trig_preop_f64 v[16:17], |v[10:11]|, 2
	v_and_b32_e32 v34, 0x7fffffff, v11
	s_and_saveexec_b32 s5, s4
	s_xor_b32 s5, exec_lo, s5
	s_cbranch_execz .LBB1_14
; %bb.13:                               ;   in Loop: Header=BB1_12 Depth=1
	v_cmp_le_f64_e64 vcc_lo, 0x7b000000, |v[10:11]|
	s_mov_b32 s12, s10
	s_mov_b32 s17, s15
	v_cndmask_b32_e32 v13, v34, v23, vcc_lo
	v_cndmask_b32_e32 v12, v10, v22, vcc_lo
	v_mul_f64 v[14:15], v[20:21], v[12:13]
	v_mul_f64 v[24:25], v[18:19], v[12:13]
	;; [unrolled: 1-line block ×3, first 2 shown]
	v_fma_f64 v[26:27], v[20:21], v[12:13], -v[14:15]
	v_fma_f64 v[52:53], v[18:19], v[12:13], -v[24:25]
	;; [unrolled: 1-line block ×3, first 2 shown]
	v_add_f64 v[35:36], v[24:25], v[26:27]
	v_add_f64 v[37:38], v[35:36], -v[24:25]
	v_add_f64 v[48:49], v[14:15], v[35:36]
	v_add_f64 v[46:47], v[35:36], -v[37:38]
	v_add_f64 v[26:27], v[26:27], -v[37:38]
	v_ldexp_f64 v[37:38], v[48:49], -2
	v_add_f64 v[14:15], v[48:49], -v[14:15]
	v_add_f64 v[24:25], v[24:25], -v[46:47]
	v_add_f64 v[46:47], v[50:51], v[52:53]
	v_cmp_neq_f64_e64 vcc_lo, 0x7ff00000, |v[37:38]|
	v_add_f64 v[14:15], v[35:36], -v[14:15]
	v_add_f64 v[24:25], v[26:27], v[24:25]
	v_fract_f64_e32 v[26:27], v[37:38]
	v_add_f64 v[35:36], v[46:47], v[24:25]
	v_ldexp_f64 v[26:27], v[26:27], 2
	v_add_f64 v[37:38], v[14:15], v[35:36]
	v_cndmask_b32_e32 v27, 0, v27, vcc_lo
	v_cndmask_b32_e32 v26, 0, v26, vcc_lo
	v_add_f64 v[54:55], v[35:36], -v[46:47]
	v_add_f64 v[48:49], v[37:38], v[26:27]
	v_add_f64 v[14:15], v[37:38], -v[14:15]
	v_add_f64 v[60:61], v[35:36], -v[54:55]
	;; [unrolled: 1-line block ×3, first 2 shown]
	v_cmp_gt_f64_e32 vcc_lo, 0, v[48:49]
	v_add_f64 v[48:49], v[46:47], -v[50:51]
	v_add_f64 v[14:15], v[35:36], -v[14:15]
	v_cndmask_b32_e64 v1, 0, 0x40100000, vcc_lo
	v_add_f64 v[58:59], v[46:47], -v[48:49]
	v_add_f64 v[48:49], v[52:53], -v[48:49]
	;; [unrolled: 1-line block ×3, first 2 shown]
	v_add_f64 v[26:27], v[26:27], v[0:1]
	v_add_f64 v[52:53], v[50:51], -v[58:59]
	v_add_f64 v[24:25], v[24:25], v[46:47]
	v_add_f64 v[56:57], v[37:38], v[26:27]
	;; [unrolled: 1-line block ×3, first 2 shown]
	v_cvt_i32_f64_e32 v1, v[56:57]
	v_add_f64 v[24:25], v[48:49], v[24:25]
	v_cvt_f64_i32_e32 v[54:55], v1
	v_add_f64 v[12:13], v[12:13], v[24:25]
	v_add_f64 v[26:27], v[26:27], -v[54:55]
	v_add_f64 v[12:13], v[14:15], v[12:13]
	v_add_f64 v[46:47], v[37:38], v[26:27]
	v_add_f64 v[24:25], v[46:47], -v[26:27]
	v_cmp_le_f64_e32 vcc_lo, 0.5, v[46:47]
	v_add_f64 v[14:15], v[37:38], -v[24:25]
	v_add_co_ci_u32_e64 v33, null, 0, v1, vcc_lo
	v_cndmask_b32_e64 v1, 0, 0x3ff00000, vcc_lo
	v_add_f64 v[12:13], v[12:13], v[14:15]
	v_add_f64 v[14:15], v[46:47], -v[0:1]
	v_add_f64 v[24:25], v[14:15], v[12:13]
	v_mul_f64 v[26:27], v[24:25], s[12:13]
	v_add_f64 v[14:15], v[24:25], -v[14:15]
	v_fma_f64 v[35:36], v[24:25], s[12:13], -v[26:27]
	v_add_f64 v[12:13], v[12:13], -v[14:15]
	v_fma_f64 v[14:15], v[24:25], s[16:17], v[35:36]
	v_fma_f64 v[14:15], v[12:13], s[12:13], v[14:15]
	v_add_f64 v[12:13], v[26:27], v[14:15]
	v_add_f64 v[24:25], v[12:13], -v[26:27]
	v_add_f64 v[14:15], v[14:15], -v[24:25]
	s_andn2_saveexec_b32 s5, s5
	s_cbranch_execz .LBB1_16
	s_branch .LBB1_15
.LBB1_14:                               ;   in Loop: Header=BB1_12 Depth=1
	s_andn2_saveexec_b32 s5, s5
	s_cbranch_execz .LBB1_16
.LBB1_15:                               ;   in Loop: Header=BB1_12 Depth=1
	v_mul_f64 v[12:13], |v[10:11]|, s[18:19]
	s_mov_b32 s14, s20
	v_rndne_f64_e32 v[24:25], v[12:13]
	v_fma_f64 v[12:13], v[24:25], s[10:11], |v[10:11]|
	v_mul_f64 v[14:15], v[24:25], s[20:21]
	v_cvt_i32_f64_e32 v33, v[24:25]
	v_fma_f64 v[35:36], v[24:25], s[20:21], v[12:13]
	v_add_f64 v[26:27], v[12:13], v[14:15]
	v_add_f64 v[12:13], v[12:13], -v[26:27]
	v_add_f64 v[26:27], v[26:27], -v[35:36]
	v_add_f64 v[12:13], v[12:13], v[14:15]
	v_fma_f64 v[14:15], v[24:25], s[14:15], v[14:15]
	v_add_f64 v[12:13], v[26:27], v[12:13]
	v_add_f64 v[12:13], v[12:13], -v[14:15]
	v_fma_f64 v[14:15], v[24:25], s[22:23], v[12:13]
	v_add_f64 v[12:13], v[35:36], v[14:15]
	v_add_f64 v[26:27], v[12:13], -v[35:36]
	v_add_f64 v[14:15], v[14:15], -v[26:27]
.LBB1_16:                               ;   in Loop: Header=BB1_12 Depth=1
	s_or_b32 exec_lo, exec_lo, s5
                                        ; implicit-def: $vgpr35
                                        ; implicit-def: $vgpr24_vgpr25
                                        ; implicit-def: $vgpr26_vgpr27
	s_and_saveexec_b32 s5, s4
	s_xor_b32 s4, exec_lo, s5
	s_cbranch_execz .LBB1_18
; %bb.17:                               ;   in Loop: Header=BB1_12 Depth=1
	v_cmp_le_f64_e64 vcc_lo, 0x7b000000, |v[10:11]|
	s_mov_b32 s12, s10
	s_mov_b32 s17, s15
	v_cndmask_b32_e32 v23, v34, v23, vcc_lo
	v_cndmask_b32_e32 v22, v10, v22, vcc_lo
	v_mul_f64 v[24:25], v[20:21], v[22:23]
	v_mul_f64 v[26:27], v[18:19], v[22:23]
	;; [unrolled: 1-line block ×3, first 2 shown]
	v_fma_f64 v[20:21], v[20:21], v[22:23], -v[24:25]
	v_fma_f64 v[18:19], v[18:19], v[22:23], -v[26:27]
	;; [unrolled: 1-line block ×3, first 2 shown]
	v_add_f64 v[34:35], v[26:27], v[20:21]
	v_add_f64 v[36:37], v[34:35], -v[26:27]
	v_add_f64 v[48:49], v[24:25], v[34:35]
	v_add_f64 v[46:47], v[34:35], -v[36:37]
	v_add_f64 v[20:21], v[20:21], -v[36:37]
	v_ldexp_f64 v[36:37], v[48:49], -2
	v_add_f64 v[24:25], v[48:49], -v[24:25]
	v_add_f64 v[26:27], v[26:27], -v[46:47]
	v_add_f64 v[46:47], v[50:51], v[18:19]
	v_cmp_neq_f64_e64 vcc_lo, 0x7ff00000, |v[36:37]|
	v_add_f64 v[24:25], v[34:35], -v[24:25]
	v_add_f64 v[20:21], v[20:21], v[26:27]
	v_fract_f64_e32 v[26:27], v[36:37]
	v_add_f64 v[34:35], v[46:47], v[20:21]
	v_ldexp_f64 v[26:27], v[26:27], 2
	v_add_f64 v[36:37], v[24:25], v[34:35]
	v_cndmask_b32_e32 v27, 0, v27, vcc_lo
	v_cndmask_b32_e32 v26, 0, v26, vcc_lo
	v_add_f64 v[52:53], v[34:35], -v[46:47]
	v_add_f64 v[48:49], v[36:37], v[26:27]
	v_add_f64 v[22:23], v[36:37], -v[24:25]
	v_add_f64 v[58:59], v[34:35], -v[52:53]
	v_add_f64 v[20:21], v[20:21], -v[52:53]
	v_cmp_gt_f64_e32 vcc_lo, 0, v[48:49]
	v_add_f64 v[48:49], v[46:47], -v[50:51]
	v_add_f64 v[22:23], v[34:35], -v[22:23]
	v_cndmask_b32_e64 v1, 0, 0x40100000, vcc_lo
	v_add_f64 v[56:57], v[46:47], -v[48:49]
	v_add_f64 v[18:19], v[18:19], -v[48:49]
	v_add_f64 v[46:47], v[46:47], -v[58:59]
	v_add_f64 v[26:27], v[26:27], v[0:1]
	v_add_f64 v[48:49], v[50:51], -v[56:57]
	v_add_f64 v[20:21], v[20:21], v[46:47]
	v_add_f64 v[54:55], v[36:37], v[26:27]
	;; [unrolled: 1-line block ×3, first 2 shown]
	v_cvt_i32_f64_e32 v1, v[54:55]
	v_add_f64 v[18:19], v[18:19], v[20:21]
	v_cvt_f64_i32_e32 v[52:53], v1
	v_add_f64 v[16:17], v[16:17], v[18:19]
	v_add_f64 v[26:27], v[26:27], -v[52:53]
	v_add_f64 v[16:17], v[22:23], v[16:17]
	v_add_f64 v[20:21], v[36:37], v[26:27]
	v_add_f64 v[18:19], v[20:21], -v[26:27]
	v_cmp_le_f64_e32 vcc_lo, 0.5, v[20:21]
	v_add_f64 v[18:19], v[36:37], -v[18:19]
	v_add_co_ci_u32_e64 v35, null, 0, v1, vcc_lo
	v_cndmask_b32_e64 v1, 0, 0x3ff00000, vcc_lo
	v_add_f64 v[16:17], v[16:17], v[18:19]
	v_add_f64 v[18:19], v[20:21], -v[0:1]
	v_add_f64 v[20:21], v[18:19], v[16:17]
	v_mul_f64 v[22:23], v[20:21], s[12:13]
	v_add_f64 v[18:19], v[20:21], -v[18:19]
	v_fma_f64 v[24:25], v[20:21], s[12:13], -v[22:23]
	v_add_f64 v[16:17], v[16:17], -v[18:19]
	v_fma_f64 v[18:19], v[20:21], s[16:17], v[24:25]
	v_fma_f64 v[16:17], v[16:17], s[12:13], v[18:19]
	v_add_f64 v[24:25], v[22:23], v[16:17]
	v_add_f64 v[18:19], v[24:25], -v[22:23]
	v_add_f64 v[26:27], v[16:17], -v[18:19]
	s_andn2_saveexec_b32 s4, s4
	s_cbranch_execz .LBB1_11
	s_branch .LBB1_19
.LBB1_18:                               ;   in Loop: Header=BB1_12 Depth=1
	s_andn2_saveexec_b32 s4, s4
	s_cbranch_execz .LBB1_11
.LBB1_19:                               ;   in Loop: Header=BB1_12 Depth=1
	v_mul_f64 v[16:17], |v[10:11]|, s[18:19]
	s_mov_b32 s14, s20
	v_rndne_f64_e32 v[16:17], v[16:17]
	v_fma_f64 v[18:19], v[16:17], s[10:11], |v[10:11]|
	v_mul_f64 v[20:21], v[16:17], s[20:21]
	v_cvt_i32_f64_e32 v35, v[16:17]
	v_fma_f64 v[26:27], v[16:17], s[20:21], v[18:19]
	v_add_f64 v[22:23], v[18:19], v[20:21]
	v_add_f64 v[18:19], v[18:19], -v[22:23]
	v_add_f64 v[22:23], v[22:23], -v[26:27]
	v_add_f64 v[18:19], v[18:19], v[20:21]
	v_fma_f64 v[20:21], v[16:17], s[14:15], v[20:21]
	v_add_f64 v[18:19], v[22:23], v[18:19]
	v_add_f64 v[18:19], v[18:19], -v[20:21]
	v_fma_f64 v[18:19], v[16:17], s[22:23], v[18:19]
	v_add_f64 v[24:25], v[26:27], v[18:19]
	v_add_f64 v[20:21], v[24:25], -v[26:27]
	v_add_f64 v[26:27], v[18:19], -v[20:21]
	s_branch .LBB1_11
.LBB1_20:
	s_clause 0xd
	buffer_load_dword v0, off, s[0:3], 0 offset:16
	buffer_load_dword v1, off, s[0:3], 0 offset:20
	;; [unrolled: 1-line block ×14, first 2 shown]
	v_mul_u32_u24_e32 v16, 0x240, v32
	v_add_nc_u32_e32 v17, 0x800, v28
	s_mov_b32 s4, 0x667f3bcd
	s_mov_b32 s5, 0x3fe6a09e
	s_waitcnt vmcnt(6)
	ds_write2_b64 v28, v[2:3], v[8:9] offset1:72
	s_waitcnt vmcnt(3)
	ds_write2_b64 v28, v[4:5], v[10:11] offset0:144 offset1:216
	s_waitcnt vmcnt(1)
	ds_write2_b64 v17, v[0:1], v[14:15] offset0:32 offset1:104
	;; [unrolled: 2-line block ×3, first 2 shown]
	v_lshl_or_b32 v35, v31, 3, v16
	s_waitcnt lgkmcnt(0)
	s_waitcnt_vscnt null, 0x0
	s_barrier
	buffer_gl0_inv
	ds_read2_b64 v[0:3], v35 offset1:8
	ds_read2_b64 v[4:7], v35 offset0:16 offset1:24
	ds_read2_b64 v[8:11], v35 offset0:32 offset1:40
	;; [unrolled: 1-line block ×3, first 2 shown]
	s_waitcnt lgkmcnt(3)
	buffer_store_dword v1, off, s[0:3], 0 offset:4
	buffer_store_dword v0, off, s[0:3], 0
	buffer_store_dword v3, off, s[0:3], 0 offset:20
	buffer_store_dword v2, off, s[0:3], 0 offset:16
	s_waitcnt lgkmcnt(2)
	buffer_store_dword v5, off, s[0:3], 0 offset:36
	buffer_store_dword v4, off, s[0:3], 0 offset:32
	buffer_store_dword v7, off, s[0:3], 0 offset:52
	buffer_store_dword v6, off, s[0:3], 0 offset:48
	s_waitcnt lgkmcnt(1)
	buffer_store_dword v9, off, s[0:3], 0 offset:68
	buffer_store_dword v8, off, s[0:3], 0 offset:64
	;; [unrolled: 5-line block ×3, first 2 shown]
	buffer_store_dword v15, off, s[0:3], 0 offset:116
	buffer_store_dword v14, off, s[0:3], 0 offset:112
	s_waitcnt_vscnt null, 0x0
	s_barrier
	buffer_gl0_inv
	s_clause 0xf
	buffer_load_dword v1, off, s[0:3], 0 offset:76
	buffer_load_dword v3, off, s[0:3], 0 offset:108
	;; [unrolled: 1-line block ×16, first 2 shown]
	s_waitcnt vmcnt(6)
	ds_write2_b64 v28, v[8:9], v[0:1] offset1:72
	s_waitcnt vmcnt(2)
	ds_write2_b64 v28, v[12:13], v[2:3] offset0:144 offset1:216
	ds_write2_b64 v17, v[10:11], v[6:7] offset0:32 offset1:104
	s_waitcnt vmcnt(0)
	ds_write2_b64 v17, v[14:15], v[4:5] offset0:176 offset1:248
	s_waitcnt lgkmcnt(0)
	s_barrier
	buffer_gl0_inv
	s_clause 0xf
	buffer_load_dword v16, off, s[0:3], 0 offset:48
	buffer_load_dword v19, off, s[0:3], 0 offset:116
	;; [unrolled: 1-line block ×11, first 2 shown]
	buffer_load_dword v31, off, s[0:3], 0
	buffer_load_dword v32, off, s[0:3], 0 offset:4
	buffer_load_dword v23, off, s[0:3], 0 offset:100
	;; [unrolled: 1-line block ×4, first 2 shown]
	ds_read2_b64 v[0:3], v35 offset1:8
	ds_read2_b64 v[4:7], v35 offset0:32 offset1:40
	ds_read2_b64 v[8:11], v35 offset0:16 offset1:24
	;; [unrolled: 1-line block ×3, first 2 shown]
	s_waitcnt lgkmcnt(2)
	v_add_f64 v[35:36], v[0:1], v[4:5]
	v_add_f64 v[37:38], v[2:3], v[6:7]
	s_waitcnt lgkmcnt(0)
	v_add_f64 v[48:49], v[10:11], v[14:15]
	v_add_f64 v[14:15], v[10:11], -v[14:15]
	v_add_f64 v[46:47], v[8:9], v[12:13]
	v_add_f64 v[2:3], v[2:3], -v[6:7]
	v_add_f64 v[8:9], v[8:9], -v[12:13]
	;; [unrolled: 1-line block ×3, first 2 shown]
	v_add_f64 v[52:53], v[37:38], v[48:49]
	v_add_f64 v[50:51], v[35:36], v[46:47]
	;; [unrolled: 1-line block ×3, first 2 shown]
	v_ldexp_f64 v[54:55], v[54:55], -9
	buffer_store_dword v54, off, s[0:3], 0 offset:8
	buffer_load_dword v10, off, s[0:3], 0 offset:8
	buffer_store_dword v55, off, s[0:3], 0 offset:12
	s_waitcnt vmcnt(13)
	v_add_f64 v[56:57], v[16:17], -v[18:19]
	v_add_f64 v[16:17], v[16:17], v[18:19]
	s_waitcnt vmcnt(8)
	v_add_f64 v[58:59], v[24:25], v[20:21]
	v_add_f64 v[6:7], v[24:25], -v[20:21]
	v_add_f64 v[24:25], v[37:38], -v[48:49]
	s_waitcnt vmcnt(3)
	v_add_f64 v[11:12], v[26:27], -v[22:23]
	v_add_f64 v[22:23], v[26:27], v[22:23]
	s_waitcnt vmcnt(1)
	v_add_f64 v[20:21], v[31:32], v[33:34]
	v_add_f64 v[4:5], v[31:32], -v[33:34]
	v_add_f64 v[33:34], v[35:36], -v[46:47]
	v_add_f64 v[18:19], -v[56:57], -v[14:15]
	v_add_f64 v[13:14], v[56:57], -v[14:15]
	v_add_f64 v[26:27], v[58:59], -v[16:17]
	;; [unrolled: 1-line block ×3, first 2 shown]
	v_add_f64 v[2:3], v[6:7], v[2:3]
	v_add_f64 v[15:16], v[58:59], v[16:17]
	v_fma_f64 v[6:7], v[11:12], 0, -v[8:9]
	v_fma_f64 v[8:9], v[8:9], 0, v[11:12]
	v_mul_f64 v[18:19], v[18:19], s[4:5]
	v_mul_f64 v[11:12], v[13:14], s[4:5]
	v_add_f64 v[13:14], v[20:21], v[22:23]
	v_add_f64 v[20:21], v[20:21], -v[22:23]
	v_fma_f64 v[22:23], v[26:27], 0, -v[24:25]
	v_fma_f64 v[24:25], v[24:25], 0, v[26:27]
	v_add_f64 v[26:27], v[50:51], -v[52:53]
	v_add_f64 v[35:36], v[4:5], v[6:7]
	v_add_f64 v[46:47], v[0:1], v[8:9]
	v_add_f64 v[4:5], v[4:5], -v[6:7]
	v_add_f64 v[0:1], v[0:1], -v[8:9]
	v_fma_f64 v[37:38], v[31:32], s[4:5], v[18:19]
	v_fma_f64 v[48:49], v[2:3], s[4:5], v[11:12]
	v_fma_f64 v[17:18], v[31:32], s[4:5], -v[18:19]
	v_fma_f64 v[2:3], v[2:3], s[4:5], -v[11:12]
	v_add_f64 v[50:51], v[13:14], v[15:16]
	v_add_f64 v[11:12], v[13:14], -v[15:16]
	v_add_f64 v[13:14], v[20:21], v[22:23]
	v_add_f64 v[15:16], v[33:34], v[24:25]
	v_add_f64 v[19:20], v[20:21], -v[22:23]
	v_add_f64 v[21:22], v[33:34], -v[24:25]
	v_ldexp_f64 v[23:24], v[26:27], -9
	v_add_f64 v[25:26], v[35:36], v[37:38]
	v_add_f64 v[33:34], v[46:47], -v[48:49]
	v_add_f64 v[6:7], v[46:47], v[48:49]
	v_fma_f64 v[31:32], v[17:18], 0, -v[2:3]
	v_fma_f64 v[2:3], v[2:3], 0, v[17:18]
	v_add_f64 v[8:9], v[35:36], -v[37:38]
	v_ldexp_f64 v[27:28], v[50:51], -9
	v_ldexp_f64 v[11:12], v[11:12], -9
	;; [unrolled: 1-line block ×4, first 2 shown]
	buffer_store_dword v24, off, s[0:3], 0 offset:28
	buffer_store_dword v23, off, s[0:3], 0 offset:24
	v_ldexp_f64 v[19:20], v[21:22], -9
	v_ldexp_f64 v[15:16], v[15:16], -9
	v_add_co_u32 v35, vcc_lo, v29, 0xc00
	v_add_co_ci_u32_e64 v36, null, 0, v30, vcc_lo
	v_add_co_u32 v37, vcc_lo, v29, 0x1c00
	v_add_co_ci_u32_e64 v38, null, 0, v30, vcc_lo
	v_ldexp_f64 v[21:22], v[25:26], -9
	v_ldexp_f64 v[25:26], v[33:34], -9
	;; [unrolled: 1-line block ×3, first 2 shown]
	v_add_f64 v[23:24], v[4:5], v[31:32]
	v_add_f64 v[33:34], v[0:1], v[2:3]
	v_add_f64 v[4:5], v[4:5], -v[31:32]
	v_add_f64 v[0:1], v[0:1], -v[2:3]
	v_ldexp_f64 v[8:9], v[8:9], -9
	buffer_store_dword v27, off, s[0:3], 0
	buffer_store_dword v28, off, s[0:3], 0 offset:4
	buffer_store_dword v12, off, s[0:3], 0 offset:20
	;; [unrolled: 1-line block ×19, first 2 shown]
	v_ldexp_f64 v[6:7], v[23:24], -9
	v_ldexp_f64 v[21:22], v[33:34], -9
	;; [unrolled: 1-line block ×4, first 2 shown]
	s_clause 0xf
	buffer_load_dword v8, off, s[0:3], 0
	buffer_load_dword v9, off, s[0:3], 0 offset:4
	buffer_load_dword v11, off, s[0:3], 0 offset:12
	buffer_load_dword v3, v42, s[0:3], 0 offen offset:12
	buffer_load_dword v4, v40, s[0:3], 0 offen
	buffer_load_dword v2, v42, s[0:3], 0 offen offset:8
	buffer_load_dword v1, v42, s[0:3], 0 offen offset:4
	buffer_load_dword v0, v42, s[0:3], 0 offen
	buffer_load_dword v13, v41, s[0:3], 0 offen offset:4
	buffer_load_dword v14, v41, s[0:3], 0 offen offset:8
	;; [unrolled: 1-line block ×3, first 2 shown]
	buffer_load_dword v16, v45, s[0:3], 0 offen
	buffer_load_dword v17, v45, s[0:3], 0 offen offset:4
	buffer_load_dword v18, v45, s[0:3], 0 offen offset:8
	;; [unrolled: 1-line block ×3, first 2 shown]
	buffer_load_dword v20, v39, s[0:3], 0 offen
	buffer_store_dword v7, off, s[0:3], 0 offset:100
	buffer_store_dword v6, off, s[0:3], 0 offset:96
	;; [unrolled: 1-line block ×8, first 2 shown]
	s_clause 0xe
	buffer_load_dword v7, v40, s[0:3], 0 offen offset:12
	buffer_load_dword v24, v44, s[0:3], 0 offen
	buffer_load_dword v25, v44, s[0:3], 0 offen offset:4
	buffer_load_dword v26, v44, s[0:3], 0 offen offset:8
	;; [unrolled: 1-line block ×3, first 2 shown]
	buffer_load_dword v12, v41, s[0:3], 0 offen
	buffer_load_dword v6, v40, s[0:3], 0 offen offset:8
	buffer_load_dword v5, v40, s[0:3], 0 offen offset:4
	buffer_load_dword v21, v39, s[0:3], 0 offen offset:4
	buffer_load_dword v22, v39, s[0:3], 0 offen offset:8
	buffer_load_dword v23, v39, s[0:3], 0 offen offset:12
	buffer_load_dword v31, v43, s[0:3], 0 offen
	buffer_load_dword v32, v43, s[0:3], 0 offen offset:4
	buffer_load_dword v33, v43, s[0:3], 0 offen offset:8
	buffer_load_dword v34, v43, s[0:3], 0 offen offset:12
	s_waitcnt vmcnt(28)
	global_store_dwordx4 v[29:30], v[8:11], off
	s_waitcnt vmcnt(23)
	global_store_dwordx4 v[35:36], v[0:3], off offset:-2048
	s_waitcnt vmcnt(16)
	global_store_dwordx4 v[37:38], v[16:19], off offset:-2048
	;; [unrolled: 2-line block ×3, first 2 shown]
	global_store_dwordx4 v[35:36], v[4:7], off offset:-1024
	global_store_dwordx4 v[35:36], v[24:27], off
	global_store_dwordx4 v[35:36], v[12:15], off offset:1024
	s_waitcnt vmcnt(0)
	global_store_dwordx4 v[37:38], v[31:34], off
	s_endpgm
	.section	.rodata,"a",@progbits
	.p2align	6, 0x0
	.amdhsa_kernel _Z10ifft1D_512P15HIP_vector_typeIdLj2EE
		.amdhsa_group_segment_fixed_size 4608
		.amdhsa_private_segment_fixed_size 144
		.amdhsa_kernarg_size 8
		.amdhsa_user_sgpr_count 6
		.amdhsa_user_sgpr_private_segment_buffer 1
		.amdhsa_user_sgpr_dispatch_ptr 0
		.amdhsa_user_sgpr_queue_ptr 0
		.amdhsa_user_sgpr_kernarg_segment_ptr 1
		.amdhsa_user_sgpr_dispatch_id 0
		.amdhsa_user_sgpr_flat_scratch_init 0
		.amdhsa_user_sgpr_private_segment_size 0
		.amdhsa_wavefront_size32 1
		.amdhsa_uses_dynamic_stack 0
		.amdhsa_system_sgpr_private_segment_wavefront_offset 1
		.amdhsa_system_sgpr_workgroup_id_x 1
		.amdhsa_system_sgpr_workgroup_id_y 0
		.amdhsa_system_sgpr_workgroup_id_z 0
		.amdhsa_system_sgpr_workgroup_info 0
		.amdhsa_system_vgpr_workitem_id 0
		.amdhsa_next_free_vgpr 72
		.amdhsa_next_free_sgpr 51
		.amdhsa_reserve_vcc 1
		.amdhsa_reserve_flat_scratch 0
		.amdhsa_float_round_mode_32 0
		.amdhsa_float_round_mode_16_64 0
		.amdhsa_float_denorm_mode_32 3
		.amdhsa_float_denorm_mode_16_64 3
		.amdhsa_dx10_clamp 1
		.amdhsa_ieee_mode 1
		.amdhsa_fp16_overflow 0
		.amdhsa_workgroup_processor_mode 1
		.amdhsa_memory_ordered 1
		.amdhsa_forward_progress 1
		.amdhsa_shared_vgpr_count 0
		.amdhsa_exception_fp_ieee_invalid_op 0
		.amdhsa_exception_fp_denorm_src 0
		.amdhsa_exception_fp_ieee_div_zero 0
		.amdhsa_exception_fp_ieee_overflow 0
		.amdhsa_exception_fp_ieee_underflow 0
		.amdhsa_exception_fp_ieee_inexact 0
		.amdhsa_exception_int_div_zero 0
	.end_amdhsa_kernel
	.text
.Lfunc_end1:
	.size	_Z10ifft1D_512P15HIP_vector_typeIdLj2EE, .Lfunc_end1-_Z10ifft1D_512P15HIP_vector_typeIdLj2EE
                                        ; -- End function
	.set _Z10ifft1D_512P15HIP_vector_typeIdLj2EE.num_vgpr, 72
	.set _Z10ifft1D_512P15HIP_vector_typeIdLj2EE.num_agpr, 0
	.set _Z10ifft1D_512P15HIP_vector_typeIdLj2EE.numbered_sgpr, 51
	.set _Z10ifft1D_512P15HIP_vector_typeIdLj2EE.num_named_barrier, 0
	.set _Z10ifft1D_512P15HIP_vector_typeIdLj2EE.private_seg_size, 144
	.set _Z10ifft1D_512P15HIP_vector_typeIdLj2EE.uses_vcc, 1
	.set _Z10ifft1D_512P15HIP_vector_typeIdLj2EE.uses_flat_scratch, 0
	.set _Z10ifft1D_512P15HIP_vector_typeIdLj2EE.has_dyn_sized_stack, 0
	.set _Z10ifft1D_512P15HIP_vector_typeIdLj2EE.has_recursion, 0
	.set _Z10ifft1D_512P15HIP_vector_typeIdLj2EE.has_indirect_call, 0
	.section	.AMDGPU.csdata,"",@progbits
; Kernel info:
; codeLenInByte = 10196
; TotalNumSgprs: 53
; NumVgprs: 72
; ScratchSize: 144
; MemoryBound: 0
; FloatMode: 240
; IeeeMode: 1
; LDSByteSize: 4608 bytes/workgroup (compile time only)
; SGPRBlocks: 0
; VGPRBlocks: 8
; NumSGPRsForWavesPerEU: 53
; NumVGPRsForWavesPerEU: 72
; Occupancy: 12
; WaveLimiterHint : 1
; COMPUTE_PGM_RSRC2:SCRATCH_EN: 1
; COMPUTE_PGM_RSRC2:USER_SGPR: 6
; COMPUTE_PGM_RSRC2:TRAP_HANDLER: 0
; COMPUTE_PGM_RSRC2:TGID_X_EN: 1
; COMPUTE_PGM_RSRC2:TGID_Y_EN: 0
; COMPUTE_PGM_RSRC2:TGID_Z_EN: 0
; COMPUTE_PGM_RSRC2:TIDIG_COMP_CNT: 0
	.text
	.p2alignl 6, 3214868480
	.fill 48, 4, 3214868480
	.section	.AMDGPU.gpr_maximums,"",@progbits
	.set amdgpu.max_num_vgpr, 0
	.set amdgpu.max_num_agpr, 0
	.set amdgpu.max_num_sgpr, 0
	.text
	.type	__const._Z9fft1D_512P15HIP_vector_typeIdLj2EE.reversed,@object ; @__const._Z9fft1D_512P15HIP_vector_typeIdLj2EE.reversed
	.section	.rodata.cst32,"aM",@progbits,32
	.p2align	4, 0x0
__const._Z9fft1D_512P15HIP_vector_typeIdLj2EE.reversed:
	.long	0                               ; 0x0
	.long	4                               ; 0x4
	;; [unrolled: 1-line block ×8, first 2 shown]
	.size	__const._Z9fft1D_512P15HIP_vector_typeIdLj2EE.reversed, 32

	.type	__const._Z10ifft1D_512P15HIP_vector_typeIdLj2EE.reversed,@object ; @__const._Z10ifft1D_512P15HIP_vector_typeIdLj2EE.reversed
	.p2align	4, 0x0
__const._Z10ifft1D_512P15HIP_vector_typeIdLj2EE.reversed:
	.long	0                               ; 0x0
	.long	4                               ; 0x4
	;; [unrolled: 1-line block ×8, first 2 shown]
	.size	__const._Z10ifft1D_512P15HIP_vector_typeIdLj2EE.reversed, 32

	.type	__hip_cuid_c3c1c1a058e54e25,@object ; @__hip_cuid_c3c1c1a058e54e25
	.section	.bss,"aw",@nobits
	.globl	__hip_cuid_c3c1c1a058e54e25
__hip_cuid_c3c1c1a058e54e25:
	.byte	0                               ; 0x0
	.size	__hip_cuid_c3c1c1a058e54e25, 1

	.ident	"AMD clang version 22.0.0git (https://github.com/RadeonOpenCompute/llvm-project roc-7.2.4 26084 f58b06dce1f9c15707c5f808fd002e18c2accf7e)"
	.section	".note.GNU-stack","",@progbits
	.addrsig
	.addrsig_sym __hip_cuid_c3c1c1a058e54e25
	.amdgpu_metadata
---
amdhsa.kernels:
  - .args:
      - .address_space:  global
        .offset:         0
        .size:           8
        .value_kind:     global_buffer
    .group_segment_fixed_size: 4608
    .kernarg_segment_align: 8
    .kernarg_segment_size: 8
    .language:       OpenCL C
    .language_version:
      - 2
      - 0
    .max_flat_workgroup_size: 1024
    .name:           _Z9fft1D_512P15HIP_vector_typeIdLj2EE
    .private_segment_fixed_size: 144
    .sgpr_count:     53
    .sgpr_spill_count: 0
    .symbol:         _Z9fft1D_512P15HIP_vector_typeIdLj2EE.kd
    .uniform_work_group_size: 1
    .uses_dynamic_stack: false
    .vgpr_count:     72
    .vgpr_spill_count: 0
    .wavefront_size: 32
    .workgroup_processor_mode: 1
  - .args:
      - .address_space:  global
        .offset:         0
        .size:           8
        .value_kind:     global_buffer
    .group_segment_fixed_size: 4608
    .kernarg_segment_align: 8
    .kernarg_segment_size: 8
    .language:       OpenCL C
    .language_version:
      - 2
      - 0
    .max_flat_workgroup_size: 1024
    .name:           _Z10ifft1D_512P15HIP_vector_typeIdLj2EE
    .private_segment_fixed_size: 144
    .sgpr_count:     53
    .sgpr_spill_count: 0
    .symbol:         _Z10ifft1D_512P15HIP_vector_typeIdLj2EE.kd
    .uniform_work_group_size: 1
    .uses_dynamic_stack: false
    .vgpr_count:     72
    .vgpr_spill_count: 0
    .wavefront_size: 32
    .workgroup_processor_mode: 1
amdhsa.target:   amdgcn-amd-amdhsa--gfx1030
amdhsa.version:
  - 1
  - 2
...

	.end_amdgpu_metadata
